;; amdgpu-corpus repo=ROCm/rocFFT kind=compiled arch=gfx1030 opt=O3
	.text
	.amdgcn_target "amdgcn-amd-amdhsa--gfx1030"
	.amdhsa_code_object_version 6
	.protected	fft_rtc_fwd_len816_factors_17_2_3_2_2_2_wgs_51_tpt_51_halfLds_dp_op_CI_CI_unitstride_sbrr_C2R_dirReg ; -- Begin function fft_rtc_fwd_len816_factors_17_2_3_2_2_2_wgs_51_tpt_51_halfLds_dp_op_CI_CI_unitstride_sbrr_C2R_dirReg
	.globl	fft_rtc_fwd_len816_factors_17_2_3_2_2_2_wgs_51_tpt_51_halfLds_dp_op_CI_CI_unitstride_sbrr_C2R_dirReg
	.p2align	8
	.type	fft_rtc_fwd_len816_factors_17_2_3_2_2_2_wgs_51_tpt_51_halfLds_dp_op_CI_CI_unitstride_sbrr_C2R_dirReg,@function
fft_rtc_fwd_len816_factors_17_2_3_2_2_2_wgs_51_tpt_51_halfLds_dp_op_CI_CI_unitstride_sbrr_C2R_dirReg: ; @fft_rtc_fwd_len816_factors_17_2_3_2_2_2_wgs_51_tpt_51_halfLds_dp_op_CI_CI_unitstride_sbrr_C2R_dirReg
; %bb.0:
	s_clause 0x2
	s_load_dwordx4 s[12:15], s[4:5], 0x0
	s_load_dwordx4 s[8:11], s[4:5], 0x58
	;; [unrolled: 1-line block ×3, first 2 shown]
	v_mul_u32_u24_e32 v1, 0x506, v0
	v_mov_b32_e32 v3, 0
	v_add_nc_u32_sdwa v5, s6, v1 dst_sel:DWORD dst_unused:UNUSED_PAD src0_sel:DWORD src1_sel:WORD_1
	v_mov_b32_e32 v1, 0
	v_mov_b32_e32 v6, v3
	v_mov_b32_e32 v2, 0
	s_waitcnt lgkmcnt(0)
	v_cmp_lt_u64_e64 s0, s[14:15], 2
	s_and_b32 vcc_lo, exec_lo, s0
	s_cbranch_vccnz .LBB0_8
; %bb.1:
	s_load_dwordx2 s[0:1], s[4:5], 0x10
	v_mov_b32_e32 v1, 0
	v_mov_b32_e32 v2, 0
	s_add_u32 s2, s18, 8
	s_addc_u32 s3, s19, 0
	s_add_u32 s6, s16, 8
	s_addc_u32 s7, s17, 0
	v_mov_b32_e32 v73, v2
	v_mov_b32_e32 v72, v1
	s_mov_b64 s[22:23], 1
	s_waitcnt lgkmcnt(0)
	s_add_u32 s20, s0, 8
	s_addc_u32 s21, s1, 0
.LBB0_2:                                ; =>This Inner Loop Header: Depth=1
	s_load_dwordx2 s[24:25], s[20:21], 0x0
                                        ; implicit-def: $vgpr76_vgpr77
	s_mov_b32 s0, exec_lo
	s_waitcnt lgkmcnt(0)
	v_or_b32_e32 v4, s25, v6
	v_cmpx_ne_u64_e32 0, v[3:4]
	s_xor_b32 s1, exec_lo, s0
	s_cbranch_execz .LBB0_4
; %bb.3:                                ;   in Loop: Header=BB0_2 Depth=1
	v_cvt_f32_u32_e32 v4, s24
	v_cvt_f32_u32_e32 v7, s25
	s_sub_u32 s0, 0, s24
	s_subb_u32 s26, 0, s25
	v_fmac_f32_e32 v4, 0x4f800000, v7
	v_rcp_f32_e32 v4, v4
	v_mul_f32_e32 v4, 0x5f7ffffc, v4
	v_mul_f32_e32 v7, 0x2f800000, v4
	v_trunc_f32_e32 v7, v7
	v_fmac_f32_e32 v4, 0xcf800000, v7
	v_cvt_u32_f32_e32 v7, v7
	v_cvt_u32_f32_e32 v4, v4
	v_mul_lo_u32 v8, s0, v7
	v_mul_hi_u32 v9, s0, v4
	v_mul_lo_u32 v10, s26, v4
	v_add_nc_u32_e32 v8, v9, v8
	v_mul_lo_u32 v9, s0, v4
	v_add_nc_u32_e32 v8, v8, v10
	v_mul_hi_u32 v10, v4, v9
	v_mul_lo_u32 v11, v4, v8
	v_mul_hi_u32 v12, v4, v8
	v_mul_hi_u32 v13, v7, v9
	v_mul_lo_u32 v9, v7, v9
	v_mul_hi_u32 v14, v7, v8
	v_mul_lo_u32 v8, v7, v8
	v_add_co_u32 v10, vcc_lo, v10, v11
	v_add_co_ci_u32_e32 v11, vcc_lo, 0, v12, vcc_lo
	v_add_co_u32 v9, vcc_lo, v10, v9
	v_add_co_ci_u32_e32 v9, vcc_lo, v11, v13, vcc_lo
	v_add_co_ci_u32_e32 v10, vcc_lo, 0, v14, vcc_lo
	v_add_co_u32 v8, vcc_lo, v9, v8
	v_add_co_ci_u32_e32 v9, vcc_lo, 0, v10, vcc_lo
	v_add_co_u32 v4, vcc_lo, v4, v8
	v_add_co_ci_u32_e32 v7, vcc_lo, v7, v9, vcc_lo
	v_mul_hi_u32 v8, s0, v4
	v_mul_lo_u32 v10, s26, v4
	v_mul_lo_u32 v9, s0, v7
	v_add_nc_u32_e32 v8, v8, v9
	v_mul_lo_u32 v9, s0, v4
	v_add_nc_u32_e32 v8, v8, v10
	v_mul_hi_u32 v10, v4, v9
	v_mul_lo_u32 v11, v4, v8
	v_mul_hi_u32 v12, v4, v8
	v_mul_hi_u32 v13, v7, v9
	v_mul_lo_u32 v9, v7, v9
	v_mul_hi_u32 v14, v7, v8
	v_mul_lo_u32 v8, v7, v8
	v_add_co_u32 v10, vcc_lo, v10, v11
	v_add_co_ci_u32_e32 v11, vcc_lo, 0, v12, vcc_lo
	v_add_co_u32 v9, vcc_lo, v10, v9
	v_add_co_ci_u32_e32 v9, vcc_lo, v11, v13, vcc_lo
	v_add_co_ci_u32_e32 v10, vcc_lo, 0, v14, vcc_lo
	v_add_co_u32 v8, vcc_lo, v9, v8
	v_add_co_ci_u32_e32 v9, vcc_lo, 0, v10, vcc_lo
	v_add_co_u32 v4, vcc_lo, v4, v8
	v_add_co_ci_u32_e32 v11, vcc_lo, v7, v9, vcc_lo
	v_mul_hi_u32 v13, v5, v4
	v_mad_u64_u32 v[9:10], null, v6, v4, 0
	v_mad_u64_u32 v[7:8], null, v5, v11, 0
	;; [unrolled: 1-line block ×3, first 2 shown]
	v_add_co_u32 v4, vcc_lo, v13, v7
	v_add_co_ci_u32_e32 v7, vcc_lo, 0, v8, vcc_lo
	v_add_co_u32 v4, vcc_lo, v4, v9
	v_add_co_ci_u32_e32 v4, vcc_lo, v7, v10, vcc_lo
	v_add_co_ci_u32_e32 v7, vcc_lo, 0, v12, vcc_lo
	v_add_co_u32 v4, vcc_lo, v4, v11
	v_add_co_ci_u32_e32 v9, vcc_lo, 0, v7, vcc_lo
	v_mul_lo_u32 v10, s25, v4
	v_mad_u64_u32 v[7:8], null, s24, v4, 0
	v_mul_lo_u32 v11, s24, v9
	v_sub_co_u32 v7, vcc_lo, v5, v7
	v_add3_u32 v8, v8, v11, v10
	v_sub_nc_u32_e32 v10, v6, v8
	v_subrev_co_ci_u32_e64 v10, s0, s25, v10, vcc_lo
	v_add_co_u32 v11, s0, v4, 2
	v_add_co_ci_u32_e64 v12, s0, 0, v9, s0
	v_sub_co_u32 v13, s0, v7, s24
	v_sub_co_ci_u32_e32 v8, vcc_lo, v6, v8, vcc_lo
	v_subrev_co_ci_u32_e64 v10, s0, 0, v10, s0
	v_cmp_le_u32_e32 vcc_lo, s24, v13
	v_cmp_eq_u32_e64 s0, s25, v8
	v_cndmask_b32_e64 v13, 0, -1, vcc_lo
	v_cmp_le_u32_e32 vcc_lo, s25, v10
	v_cndmask_b32_e64 v14, 0, -1, vcc_lo
	v_cmp_le_u32_e32 vcc_lo, s24, v7
	;; [unrolled: 2-line block ×3, first 2 shown]
	v_cndmask_b32_e64 v15, 0, -1, vcc_lo
	v_cmp_eq_u32_e32 vcc_lo, s25, v10
	v_cndmask_b32_e64 v7, v15, v7, s0
	v_cndmask_b32_e32 v10, v14, v13, vcc_lo
	v_add_co_u32 v13, vcc_lo, v4, 1
	v_add_co_ci_u32_e32 v14, vcc_lo, 0, v9, vcc_lo
	v_cmp_ne_u32_e32 vcc_lo, 0, v10
	v_cndmask_b32_e32 v8, v14, v12, vcc_lo
	v_cndmask_b32_e32 v10, v13, v11, vcc_lo
	v_cmp_ne_u32_e32 vcc_lo, 0, v7
	v_cndmask_b32_e32 v77, v9, v8, vcc_lo
	v_cndmask_b32_e32 v76, v4, v10, vcc_lo
.LBB0_4:                                ;   in Loop: Header=BB0_2 Depth=1
	s_andn2_saveexec_b32 s0, s1
	s_cbranch_execz .LBB0_6
; %bb.5:                                ;   in Loop: Header=BB0_2 Depth=1
	v_cvt_f32_u32_e32 v4, s24
	s_sub_i32 s1, 0, s24
	v_mov_b32_e32 v77, v3
	v_rcp_iflag_f32_e32 v4, v4
	v_mul_f32_e32 v4, 0x4f7ffffe, v4
	v_cvt_u32_f32_e32 v4, v4
	v_mul_lo_u32 v7, s1, v4
	v_mul_hi_u32 v7, v4, v7
	v_add_nc_u32_e32 v4, v4, v7
	v_mul_hi_u32 v4, v5, v4
	v_mul_lo_u32 v7, v4, s24
	v_add_nc_u32_e32 v8, 1, v4
	v_sub_nc_u32_e32 v7, v5, v7
	v_subrev_nc_u32_e32 v9, s24, v7
	v_cmp_le_u32_e32 vcc_lo, s24, v7
	v_cndmask_b32_e32 v7, v7, v9, vcc_lo
	v_cndmask_b32_e32 v4, v4, v8, vcc_lo
	v_cmp_le_u32_e32 vcc_lo, s24, v7
	v_add_nc_u32_e32 v8, 1, v4
	v_cndmask_b32_e32 v76, v4, v8, vcc_lo
.LBB0_6:                                ;   in Loop: Header=BB0_2 Depth=1
	s_or_b32 exec_lo, exec_lo, s0
	v_mul_lo_u32 v4, v77, s24
	v_mul_lo_u32 v9, v76, s25
	s_load_dwordx2 s[0:1], s[6:7], 0x0
	v_mad_u64_u32 v[7:8], null, v76, s24, 0
	s_load_dwordx2 s[24:25], s[2:3], 0x0
	s_add_u32 s22, s22, 1
	s_addc_u32 s23, s23, 0
	s_add_u32 s2, s2, 8
	s_addc_u32 s3, s3, 0
	s_add_u32 s6, s6, 8
	v_add3_u32 v4, v8, v9, v4
	v_sub_co_u32 v5, vcc_lo, v5, v7
	s_addc_u32 s7, s7, 0
	s_add_u32 s20, s20, 8
	v_sub_co_ci_u32_e32 v4, vcc_lo, v6, v4, vcc_lo
	s_addc_u32 s21, s21, 0
	s_waitcnt lgkmcnt(0)
	v_mul_lo_u32 v6, s0, v4
	v_mul_lo_u32 v7, s1, v5
	v_mad_u64_u32 v[1:2], null, s0, v5, v[1:2]
	v_mul_lo_u32 v4, s24, v4
	v_mul_lo_u32 v8, s25, v5
	v_mad_u64_u32 v[72:73], null, s24, v5, v[72:73]
	v_cmp_ge_u64_e64 s0, s[22:23], s[14:15]
	v_add3_u32 v2, v7, v2, v6
	v_add3_u32 v73, v8, v73, v4
	s_and_b32 vcc_lo, exec_lo, s0
	s_cbranch_vccnz .LBB0_9
; %bb.7:                                ;   in Loop: Header=BB0_2 Depth=1
	v_mov_b32_e32 v5, v76
	v_mov_b32_e32 v6, v77
	s_branch .LBB0_2
.LBB0_8:
	v_mov_b32_e32 v73, v2
	v_mov_b32_e32 v77, v6
	;; [unrolled: 1-line block ×4, first 2 shown]
.LBB0_9:
	s_load_dwordx2 s[0:1], s[4:5], 0x28
	v_mul_hi_u32 v3, 0x5050506, v0
	s_lshl_b64 s[4:5], s[14:15], 3
                                        ; implicit-def: $vgpr74
                                        ; implicit-def: $vgpr4_vgpr5
	s_add_u32 s2, s18, s4
	s_addc_u32 s3, s19, s5
	s_waitcnt lgkmcnt(0)
	v_cmp_gt_u64_e32 vcc_lo, s[0:1], v[76:77]
	v_cmp_le_u64_e64 s0, s[0:1], v[76:77]
	s_and_saveexec_b32 s1, s0
	s_xor_b32 s0, exec_lo, s1
; %bb.10:
	v_mul_u32_u24_e32 v1, 51, v3
	v_mov_b32_e32 v75, 0
                                        ; implicit-def: $vgpr3
	v_sub_nc_u32_e32 v74, v0, v1
                                        ; implicit-def: $vgpr0
                                        ; implicit-def: $vgpr1_vgpr2
	v_mov_b32_e32 v4, v74
	v_mov_b32_e32 v5, v75
; %bb.11:
	s_or_saveexec_b32 s1, s0
	s_load_dwordx2 s[2:3], s[2:3], 0x0
	s_xor_b32 exec_lo, exec_lo, s1
	s_cbranch_execz .LBB0_15
; %bb.12:
	s_add_u32 s4, s16, s4
	s_addc_u32 s5, s17, s5
	v_lshlrev_b64 v[1:2], 4, v[1:2]
	s_load_dwordx2 s[4:5], s[4:5], 0x0
	v_mov_b32_e32 v75, 0
	s_waitcnt lgkmcnt(0)
	v_mul_lo_u32 v6, s5, v76
	v_mul_lo_u32 v7, s4, v77
	v_mad_u64_u32 v[4:5], null, s4, v76, 0
	s_mov_b32 s4, exec_lo
	v_add3_u32 v5, v5, v7, v6
	v_mul_u32_u24_e32 v6, 51, v3
	v_lshlrev_b64 v[3:4], 4, v[4:5]
	v_sub_nc_u32_e32 v74, v0, v6
	v_lshlrev_b32_e32 v70, 4, v74
	v_add_co_u32 v0, s0, s8, v3
	v_add_co_ci_u32_e64 v3, s0, s9, v4, s0
	v_add_co_u32 v0, s0, v0, v1
	v_add_co_ci_u32_e64 v1, s0, v3, v2, s0
	v_add_co_u32 v2, s0, v0, v70
	v_add_co_ci_u32_e64 v3, s0, 0, v1, s0
	s_clause 0x1
	global_load_dwordx4 v[6:9], v[2:3], off
	global_load_dwordx4 v[10:13], v[2:3], off offset:816
	v_add_co_u32 v4, s0, 0x800, v2
	v_add_co_ci_u32_e64 v5, s0, 0, v3, s0
	v_add_co_u32 v34, s0, 0x1000, v2
	v_add_co_ci_u32_e64 v35, s0, 0, v3, s0
	;; [unrolled: 2-line block ×5, first 2 shown]
	s_clause 0xd
	global_load_dwordx4 v[14:17], v[2:3], off offset:1632
	global_load_dwordx4 v[18:21], v[4:5], off offset:400
	;; [unrolled: 1-line block ×14, first 2 shown]
	v_mov_b32_e32 v4, v74
	v_add_nc_u32_e32 v2, 0, v70
	v_mov_b32_e32 v5, v75
	s_waitcnt vmcnt(15)
	ds_write_b128 v2, v[6:9]
	s_waitcnt vmcnt(14)
	ds_write_b128 v2, v[10:13] offset:816
	s_waitcnt vmcnt(13)
	ds_write_b128 v2, v[14:17] offset:1632
	;; [unrolled: 2-line block ×15, first 2 shown]
	v_cmpx_eq_u32_e32 50, v74
	s_cbranch_execz .LBB0_14
; %bb.13:
	v_add_co_u32 v0, s0, 0x3000, v0
	v_add_co_ci_u32_e64 v1, s0, 0, v1, s0
	v_mov_b32_e32 v4, 50
	v_mov_b32_e32 v5, 0
	;; [unrolled: 1-line block ×3, first 2 shown]
	global_load_dwordx4 v[0:3], v[0:1], off offset:768
	s_waitcnt vmcnt(0)
	ds_write_b128 v75, v[0:3] offset:13056
.LBB0_14:
	s_or_b32 exec_lo, exec_lo, s4
.LBB0_15:
	s_or_b32 exec_lo, exec_lo, s1
	v_lshlrev_b32_e32 v0, 4, v74
	s_waitcnt lgkmcnt(0)
	s_barrier
	buffer_gl0_inv
	v_lshlrev_b64 v[78:79], 4, v[4:5]
	v_add_nc_u32_e32 v178, 0, v0
	v_sub_nc_u32_e32 v10, 0, v0
	s_add_u32 s1, s12, 0x31f0
	s_addc_u32 s4, s13, 0
	s_mov_b32 s5, exec_lo
	ds_read_b64 v[6:7], v178
	ds_read_b64 v[8:9], v10 offset:13056
	s_waitcnt lgkmcnt(0)
	v_add_f64 v[0:1], v[6:7], v[8:9]
	v_add_f64 v[2:3], v[6:7], -v[8:9]
	v_cmpx_ne_u32_e32 0, v74
	s_xor_b32 s5, exec_lo, s5
	s_cbranch_execz .LBB0_17
; %bb.16:
	v_add_co_u32 v0, s0, s1, v78
	v_add_co_ci_u32_e64 v1, s0, s4, v79, s0
	v_add_f64 v[13:14], v[6:7], v[8:9]
	v_add_f64 v[8:9], v[6:7], -v[8:9]
	global_load_dwordx4 v[2:5], v[0:1], off
	ds_read_b64 v[0:1], v10 offset:13064
	ds_read_b64 v[11:12], v178 offset:8
	s_waitcnt lgkmcnt(0)
	v_add_f64 v[6:7], v[0:1], v[11:12]
	v_add_f64 v[0:1], v[11:12], -v[0:1]
	s_waitcnt vmcnt(0)
	v_fma_f64 v[11:12], v[8:9], v[4:5], v[13:14]
	v_fma_f64 v[13:14], -v[8:9], v[4:5], v[13:14]
	v_fma_f64 v[15:16], v[6:7], v[4:5], -v[0:1]
	v_fma_f64 v[17:18], v[6:7], v[4:5], v[0:1]
	v_fma_f64 v[0:1], -v[6:7], v[2:3], v[11:12]
	v_fma_f64 v[4:5], v[6:7], v[2:3], v[13:14]
	v_fma_f64 v[6:7], v[8:9], v[2:3], v[15:16]
	;; [unrolled: 1-line block ×3, first 2 shown]
	ds_write_b128 v10, v[4:7] offset:13056
.LBB0_17:
	s_andn2_saveexec_b32 s0, s5
	s_cbranch_execz .LBB0_19
; %bb.18:
	v_mov_b32_e32 v8, 0
	ds_read_b128 v[4:7], v8 offset:6528
	s_waitcnt lgkmcnt(0)
	v_add_f64 v[4:5], v[4:5], v[4:5]
	v_mul_f64 v[6:7], v[6:7], -2.0
	ds_write_b128 v8, v[4:7] offset:6528
.LBB0_19:
	s_or_b32 exec_lo, exec_lo, s0
	v_mov_b32_e32 v75, 0
	s_mov_b32 s6, 0x370991
	s_mov_b32 s18, 0x2a9d6da3
	;; [unrolled: 1-line block ×4, first 2 shown]
	v_lshlrev_b64 v[80:81], 4, v[74:75]
	s_mov_b32 s8, 0x75d4884
	s_mov_b32 s14, 0x7c9e640b
	;; [unrolled: 1-line block ×5, first 2 shown]
	v_add_co_u32 v27, s0, s1, v80
	v_add_co_ci_u32_e64 v28, s0, s4, v81, s0
	s_mov_b32 s4, 0x5d8e7cdc
	v_add_co_u32 v29, s0, 0x800, v27
	s_clause 0x1
	global_load_dwordx4 v[4:7], v[27:28], off offset:816
	global_load_dwordx4 v[11:14], v[27:28], off offset:1632
	v_add_co_ci_u32_e64 v30, s0, 0, v28, s0
	ds_write_b128 v178, v[0:3]
	s_mov_b32 s5, 0xbfd71e95
	s_mov_b32 s20, 0xeb564b22
	global_load_dwordx4 v[15:18], v[29:30], off offset:400
	ds_read_b128 v[0:3], v178 offset:816
	ds_read_b128 v[19:22], v10 offset:12240
	global_load_dwordx4 v[23:26], v[29:30], off offset:1216
	s_mov_b32 s17, 0x3fdc86fa
	s_mov_b32 s21, 0xbfefdd0d
	;; [unrolled: 1-line block ×18, first 2 shown]
	s_waitcnt lgkmcnt(0)
	v_add_f64 v[8:9], v[0:1], v[19:20]
	v_add_f64 v[31:32], v[21:22], v[2:3]
	v_add_f64 v[19:20], v[0:1], -v[19:20]
	v_add_f64 v[0:1], v[2:3], -v[21:22]
	s_mov_b32 s38, 0x7faef3
	s_mov_b32 s39, 0xbfef7484
	s_mov_b32 s33, exec_lo
	s_waitcnt vmcnt(3)
	v_fma_f64 v[2:3], v[19:20], v[6:7], v[8:9]
	v_fma_f64 v[21:22], v[31:32], v[6:7], v[0:1]
	v_fma_f64 v[8:9], -v[19:20], v[6:7], v[8:9]
	v_fma_f64 v[33:34], v[31:32], v[6:7], -v[0:1]
	v_fma_f64 v[0:1], -v[31:32], v[4:5], v[2:3]
	v_fma_f64 v[2:3], v[19:20], v[4:5], v[21:22]
	v_fma_f64 v[6:7], v[31:32], v[4:5], v[8:9]
	;; [unrolled: 1-line block ×3, first 2 shown]
	ds_write_b128 v178, v[0:3] offset:816
	ds_write_b128 v10, v[6:9] offset:12240
	ds_read_b128 v[0:3], v178 offset:1632
	ds_read_b128 v[4:7], v10 offset:11424
	global_load_dwordx4 v[19:22], v[29:30], off offset:2032
	s_waitcnt lgkmcnt(0)
	v_add_f64 v[8:9], v[0:1], v[4:5]
	v_add_f64 v[29:30], v[6:7], v[2:3]
	v_add_f64 v[31:32], v[0:1], -v[4:5]
	v_add_f64 v[0:1], v[2:3], -v[6:7]
	s_waitcnt vmcnt(3)
	v_fma_f64 v[2:3], v[31:32], v[13:14], v[8:9]
	v_fma_f64 v[4:5], v[29:30], v[13:14], v[0:1]
	v_fma_f64 v[6:7], -v[31:32], v[13:14], v[8:9]
	v_fma_f64 v[8:9], v[29:30], v[13:14], -v[0:1]
	v_fma_f64 v[0:1], -v[29:30], v[11:12], v[2:3]
	v_fma_f64 v[2:3], v[31:32], v[11:12], v[4:5]
	v_fma_f64 v[4:5], v[29:30], v[11:12], v[6:7]
	;; [unrolled: 1-line block ×3, first 2 shown]
	v_add_co_u32 v8, s0, 0x1000, v27
	v_add_co_ci_u32_e64 v9, s0, 0, v28, s0
	ds_write_b128 v178, v[0:3] offset:1632
	ds_write_b128 v10, v[4:7] offset:11424
	ds_read_b128 v[0:3], v178 offset:2448
	ds_read_b128 v[4:7], v10 offset:10608
	global_load_dwordx4 v[11:14], v[8:9], off offset:800
	s_waitcnt lgkmcnt(0)
	v_add_f64 v[27:28], v[0:1], v[4:5]
	v_add_f64 v[29:30], v[6:7], v[2:3]
	v_add_f64 v[31:32], v[0:1], -v[4:5]
	v_add_f64 v[0:1], v[2:3], -v[6:7]
	s_waitcnt vmcnt(3)
	v_fma_f64 v[2:3], v[31:32], v[17:18], v[27:28]
	v_fma_f64 v[4:5], v[29:30], v[17:18], v[0:1]
	v_fma_f64 v[6:7], -v[31:32], v[17:18], v[27:28]
	v_fma_f64 v[17:18], v[29:30], v[17:18], -v[0:1]
	v_fma_f64 v[0:1], -v[29:30], v[15:16], v[2:3]
	v_fma_f64 v[2:3], v[31:32], v[15:16], v[4:5]
	v_fma_f64 v[4:5], v[29:30], v[15:16], v[6:7]
	;; [unrolled: 1-line block ×3, first 2 shown]
	ds_write_b128 v178, v[0:3] offset:2448
	ds_write_b128 v10, v[4:7] offset:10608
	ds_read_b128 v[0:3], v178 offset:3264
	ds_read_b128 v[4:7], v10 offset:9792
	global_load_dwordx4 v[15:18], v[8:9], off offset:1616
	s_waitcnt lgkmcnt(0)
	v_add_f64 v[8:9], v[0:1], v[4:5]
	v_add_f64 v[27:28], v[6:7], v[2:3]
	v_add_f64 v[29:30], v[0:1], -v[4:5]
	v_add_f64 v[0:1], v[2:3], -v[6:7]
	s_waitcnt vmcnt(3)
	v_fma_f64 v[2:3], v[29:30], v[25:26], v[8:9]
	v_fma_f64 v[4:5], v[27:28], v[25:26], v[0:1]
	v_fma_f64 v[6:7], -v[29:30], v[25:26], v[8:9]
	v_fma_f64 v[8:9], v[27:28], v[25:26], -v[0:1]
	v_fma_f64 v[0:1], -v[27:28], v[23:24], v[2:3]
	v_fma_f64 v[2:3], v[29:30], v[23:24], v[4:5]
	v_fma_f64 v[4:5], v[27:28], v[23:24], v[6:7]
	v_fma_f64 v[6:7], v[29:30], v[23:24], v[8:9]
	ds_write_b128 v178, v[0:3] offset:3264
	ds_write_b128 v10, v[4:7] offset:9792
	ds_read_b128 v[0:3], v178 offset:4080
	ds_read_b128 v[4:7], v10 offset:8976
	s_waitcnt lgkmcnt(0)
	v_add_f64 v[8:9], v[0:1], v[4:5]
	v_add_f64 v[23:24], v[6:7], v[2:3]
	v_add_f64 v[25:26], v[0:1], -v[4:5]
	v_add_f64 v[0:1], v[2:3], -v[6:7]
	s_waitcnt vmcnt(2)
	v_fma_f64 v[2:3], v[25:26], v[21:22], v[8:9]
	v_fma_f64 v[4:5], v[23:24], v[21:22], v[0:1]
	v_fma_f64 v[6:7], -v[25:26], v[21:22], v[8:9]
	v_fma_f64 v[8:9], v[23:24], v[21:22], -v[0:1]
	v_fma_f64 v[0:1], -v[23:24], v[19:20], v[2:3]
	v_fma_f64 v[2:3], v[25:26], v[19:20], v[4:5]
	v_fma_f64 v[4:5], v[23:24], v[19:20], v[6:7]
	v_fma_f64 v[6:7], v[25:26], v[19:20], v[8:9]
	ds_write_b128 v178, v[0:3] offset:4080
	ds_write_b128 v10, v[4:7] offset:8976
	ds_read_b128 v[0:3], v178 offset:4896
	ds_read_b128 v[4:7], v10 offset:8160
	;; [unrolled: 18-line block ×3, first 2 shown]
	s_waitcnt lgkmcnt(0)
	v_add_f64 v[8:9], v[0:1], v[4:5]
	v_add_f64 v[11:12], v[6:7], v[2:3]
	v_add_f64 v[13:14], v[0:1], -v[4:5]
	v_add_f64 v[0:1], v[2:3], -v[6:7]
	s_waitcnt vmcnt(0)
	v_fma_f64 v[2:3], v[13:14], v[17:18], v[8:9]
	v_fma_f64 v[4:5], v[11:12], v[17:18], v[0:1]
	v_fma_f64 v[6:7], -v[13:14], v[17:18], v[8:9]
	v_fma_f64 v[8:9], v[11:12], v[17:18], -v[0:1]
	v_fma_f64 v[0:1], -v[11:12], v[15:16], v[2:3]
	v_fma_f64 v[2:3], v[13:14], v[15:16], v[4:5]
	v_fma_f64 v[4:5], v[11:12], v[15:16], v[6:7]
	;; [unrolled: 1-line block ×3, first 2 shown]
	ds_write_b128 v178, v[0:3] offset:5712
	ds_write_b128 v10, v[4:7] offset:7344
	s_waitcnt lgkmcnt(0)
	s_barrier
	buffer_gl0_inv
	s_barrier
	buffer_gl0_inv
	ds_read_b128 v[4:7], v178 offset:12288
	ds_read_b128 v[68:71], v178 offset:768
	;; [unrolled: 1-line block ×3, first 2 shown]
	ds_read_b128 v[24:27], v178
	ds_read_b128 v[60:63], v178 offset:1536
	ds_read_b128 v[48:51], v178 offset:2304
	;; [unrolled: 1-line block ×9, first 2 shown]
	s_waitcnt lgkmcnt(11)
	v_add_f64 v[172:173], v[70:71], -v[6:7]
	v_add_f64 v[170:171], v[68:69], -v[4:5]
	v_add_f64 v[166:167], v[68:69], v[4:5]
	s_waitcnt lgkmcnt(8)
	v_add_f64 v[102:103], v[62:63], -v[10:11]
	v_add_f64 v[176:177], v[70:71], v[6:7]
	v_add_f64 v[92:93], v[60:61], -v[8:9]
	v_add_f64 v[94:95], v[60:61], v[8:9]
	v_add_f64 v[156:157], v[62:63], v[10:11]
	s_waitcnt lgkmcnt(6)
	v_add_f64 v[106:107], v[50:51], -v[14:15]
	v_add_f64 v[96:97], v[48:49], -v[12:13]
	v_add_f64 v[104:105], v[48:49], v[12:13]
	v_add_f64 v[158:159], v[50:51], v[14:15]
	s_waitcnt lgkmcnt(4)
	v_add_f64 v[110:111], v[58:59], -v[18:19]
	;; [unrolled: 5-line block ×4, first 2 shown]
	v_add_f64 v[82:83], v[64:65], -v[28:29]
	v_mul_f64 v[168:169], v[172:173], s[4:5]
	v_mul_f64 v[174:175], v[170:171], s[4:5]
	v_add_f64 v[98:99], v[64:65], v[28:29]
	v_mul_f64 v[126:127], v[102:103], s[18:19]
	v_add_f64 v[160:161], v[66:67], v[30:31]
	v_mul_f64 v[132:133], v[92:93], s[18:19]
	v_mul_f64 v[128:129], v[106:107], s[14:15]
	;; [unrolled: 1-line block ×9, first 2 shown]
	v_fma_f64 v[0:1], v[166:167], s[6:7], v[168:169]
	v_fma_f64 v[2:3], v[176:177], s[6:7], -v[174:175]
	v_fma_f64 v[32:33], v[94:95], s[8:9], v[126:127]
	v_fma_f64 v[34:35], v[156:157], s[8:9], -v[132:133]
	;; [unrolled: 2-line block ×6, first 2 shown]
	v_add_f64 v[0:1], v[24:25], v[0:1]
	v_add_f64 v[2:3], v[26:27], v[2:3]
	;; [unrolled: 1-line block ×4, first 2 shown]
	ds_read_b128 v[44:47], v178 offset:5376
	ds_read_b128 v[32:35], v178 offset:7680
	v_add_f64 v[0:1], v[36:37], v[0:1]
	v_add_f64 v[2:3], v[38:39], v[2:3]
	s_waitcnt lgkmcnt(0)
	v_add_f64 v[138:139], v[46:47], -v[34:35]
	v_add_f64 v[84:85], v[44:45], -v[32:33]
	ds_read_b128 v[40:43], v178 offset:6144
	ds_read_b128 v[36:39], v178 offset:6912
	v_add_f64 v[152:153], v[46:47], v[34:35]
	s_waitcnt lgkmcnt(0)
	s_barrier
	buffer_gl0_inv
	v_add_f64 v[0:1], v[86:87], v[0:1]
	v_add_f64 v[2:3], v[88:89], v[2:3]
	;; [unrolled: 1-line block ×3, first 2 shown]
	v_add_f64 v[124:125], v[42:43], -v[38:39]
	v_add_f64 v[86:87], v[40:41], -v[36:37]
	v_mul_f64 v[130:131], v[138:139], s[30:31]
	v_mul_f64 v[136:137], v[84:85], s[30:31]
	v_add_f64 v[154:155], v[42:43], v[38:39]
	v_add_f64 v[0:1], v[90:91], v[0:1]
	;; [unrolled: 1-line block ×4, first 2 shown]
	v_mul_f64 v[118:119], v[124:125], s[40:41]
	v_mul_f64 v[120:121], v[86:87], s[40:41]
	v_fma_f64 v[183:184], v[88:89], s[28:29], v[130:131]
	v_fma_f64 v[185:186], v[152:153], s[28:29], -v[136:137]
	v_add_f64 v[0:1], v[179:180], v[0:1]
	v_add_f64 v[2:3], v[181:182], v[2:3]
	v_fma_f64 v[179:180], v[90:91], s[38:39], v[118:119]
	v_fma_f64 v[181:182], v[154:155], s[38:39], -v[120:121]
	v_add_f64 v[0:1], v[183:184], v[0:1]
	v_add_f64 v[2:3], v[185:186], v[2:3]
	;; [unrolled: 1-line block ×4, first 2 shown]
	v_cmpx_gt_u32_e32 48, v74
	s_cbranch_execz .LBB0_21
; %bb.20:
	v_mul_f64 v[179:180], v[176:177], s[38:39]
	v_mul_f64 v[181:182], v[172:173], s[40:41]
	;; [unrolled: 1-line block ×4, first 2 shown]
	s_mov_b32 s47, 0x3fc7851a
	s_mov_b32 s46, s40
	;; [unrolled: 1-line block ×8, first 2 shown]
	v_mul_f64 v[187:188], v[156:157], s[6:7]
	v_mul_f64 v[189:190], v[156:157], s[16:17]
	;; [unrolled: 1-line block ×4, first 2 shown]
	v_add_f64 v[70:71], v[26:27], v[70:71]
	v_add_f64 v[68:69], v[24:25], v[68:69]
	v_mul_f64 v[191:192], v[158:159], s[28:29]
	v_mul_f64 v[193:194], v[106:107], s[30:31]
	;; [unrolled: 1-line block ×4, first 2 shown]
	v_fma_f64 v[201:202], v[170:171], s[46:47], v[179:180]
	v_fma_f64 v[203:204], v[166:167], s[38:39], v[181:182]
	;; [unrolled: 1-line block ×3, first 2 shown]
	v_fma_f64 v[181:182], v[166:167], s[38:39], -v[181:182]
	v_fma_f64 v[207:208], v[170:171], s[0:1], v[183:184]
	v_fma_f64 v[209:210], v[166:167], s[28:29], v[185:186]
	;; [unrolled: 1-line block ×3, first 2 shown]
	v_fma_f64 v[185:186], v[166:167], s[28:29], -v[185:186]
	s_mov_b32 s51, 0x3fe58eea
	s_mov_b32 s50, s18
	;; [unrolled: 1-line block ×4, first 2 shown]
	v_fma_f64 v[215:216], v[92:93], s[4:5], v[187:188]
	v_fma_f64 v[187:188], v[92:93], s[42:43], v[187:188]
	;; [unrolled: 1-line block ×4, first 2 shown]
	v_fma_f64 v[197:198], v[94:95], s[6:7], -v[197:198]
	v_fma_f64 v[221:222], v[94:95], s[16:17], v[205:206]
	s_mov_b32 s53, 0x3fe9895b
	s_mov_b32 s52, s34
	v_mul_f64 v[211:212], v[162:163], s[8:9]
	v_mul_f64 v[213:214], v[162:163], s[36:37]
	v_add_f64 v[201:202], v[26:27], v[201:202]
	v_add_f64 v[203:204], v[24:25], v[203:204]
	;; [unrolled: 1-line block ×6, first 2 shown]
	v_mul_f64 v[227:228], v[110:111], s[50:51]
	v_mul_f64 v[229:230], v[110:111], s[52:53]
	v_add_f64 v[62:63], v[70:71], v[62:63]
	v_add_f64 v[60:61], v[68:69], v[60:61]
	v_fma_f64 v[68:69], v[92:93], s[44:45], v[189:190]
	v_add_f64 v[70:71], v[26:27], v[183:184]
	v_fma_f64 v[183:184], v[96:97], s[0:1], v[191:192]
	v_fma_f64 v[189:190], v[104:105], s[28:29], v[193:194]
	;; [unrolled: 1-line block ×3, first 2 shown]
	v_fma_f64 v[205:206], v[94:95], s[16:17], -v[205:206]
	v_add_f64 v[185:186], v[24:25], v[185:186]
	v_fma_f64 v[193:194], v[104:105], s[28:29], -v[193:194]
	v_fma_f64 v[231:232], v[96:97], s[48:49], v[195:196]
	v_mul_f64 v[223:224], v[164:165], s[36:37]
	v_mul_f64 v[225:226], v[116:117], s[34:35]
	v_fma_f64 v[195:196], v[96:97], s[20:21], v[195:196]
	v_add_f64 v[201:202], v[215:216], v[201:202]
	v_add_f64 v[203:204], v[219:220], v[203:204]
	;; [unrolled: 1-line block ×4, first 2 shown]
	v_fma_f64 v[187:188], v[104:105], s[22:23], v[199:200]
	v_add_f64 v[197:198], v[217:218], v[207:208]
	v_add_f64 v[207:208], v[221:222], v[209:210]
	v_mul_f64 v[209:210], v[164:165], s[6:7]
	v_mul_f64 v[215:216], v[116:117], s[4:5]
	v_fma_f64 v[199:200], v[104:105], s[22:23], -v[199:200]
	v_fma_f64 v[221:222], v[100:101], s[18:19], v[211:212]
	v_add_f64 v[68:69], v[68:69], v[70:71]
	v_fma_f64 v[70:71], v[100:101], s[50:51], v[211:212]
	v_fma_f64 v[211:212], v[100:101], s[34:35], v[213:214]
	;; [unrolled: 1-line block ×3, first 2 shown]
	v_fma_f64 v[227:228], v[112:113], s[8:9], -v[227:228]
	v_add_f64 v[185:186], v[205:206], v[185:186]
	v_add_f64 v[50:51], v[62:63], v[50:51]
	;; [unrolled: 1-line block ×3, first 2 shown]
	v_mul_f64 v[217:218], v[160:161], s[16:17]
	v_mul_f64 v[219:220], v[160:161], s[38:39]
	v_fma_f64 v[205:206], v[108:109], s[52:53], v[223:224]
	v_add_f64 v[60:61], v[183:184], v[201:202]
	v_add_f64 v[62:63], v[189:190], v[203:204]
	;; [unrolled: 1-line block ×4, first 2 shown]
	v_fma_f64 v[183:184], v[112:113], s[36:37], v[229:230]
	v_add_f64 v[189:190], v[231:232], v[197:198]
	v_add_f64 v[187:188], v[187:188], v[207:208]
	v_mul_f64 v[191:192], v[122:123], s[40:41]
	v_mul_f64 v[201:202], v[122:123], s[44:45]
	v_fma_f64 v[203:204], v[100:101], s[52:53], v[213:214]
	v_fma_f64 v[207:208], v[114:115], s[36:37], v[225:226]
	v_add_f64 v[68:69], v[195:196], v[68:69]
	v_fma_f64 v[195:196], v[108:109], s[34:35], v[223:224]
	v_fma_f64 v[213:214], v[114:115], s[36:37], -v[225:226]
	v_fma_f64 v[223:224], v[108:109], s[42:43], v[209:210]
	v_fma_f64 v[225:226], v[112:113], s[36:37], -v[229:230]
	v_add_f64 v[185:186], v[199:200], v[185:186]
	v_add_f64 v[50:51], v[50:51], v[58:59]
	;; [unrolled: 1-line block ×3, first 2 shown]
	v_mul_f64 v[193:194], v[152:153], s[26:27]
	v_mul_f64 v[197:198], v[138:139], s[24:25]
	v_fma_f64 v[199:200], v[114:115], s[6:7], -v[215:216]
	v_add_f64 v[56:57], v[221:222], v[60:61]
	v_add_f64 v[58:59], v[233:234], v[62:63]
	;; [unrolled: 1-line block ×4, first 2 shown]
	v_fma_f64 v[70:71], v[114:115], s[6:7], v[215:216]
	v_add_f64 v[179:180], v[211:212], v[189:190]
	v_add_f64 v[181:182], v[183:184], v[187:188]
	v_mul_f64 v[183:184], v[152:153], s[8:9]
	v_mul_f64 v[187:188], v[138:139], s[50:51]
	v_fma_f64 v[189:190], v[108:109], s[4:5], v[209:210]
	v_fma_f64 v[209:210], v[82:83], s[14:15], v[217:218]
	v_add_f64 v[68:69], v[203:204], v[68:69]
	v_fma_f64 v[203:204], v[82:83], s[44:45], v[217:218]
	v_fma_f64 v[211:212], v[82:83], s[46:47], v[219:220]
	v_fma_f64 v[215:216], v[98:99], s[16:17], v[201:202]
	v_fma_f64 v[201:202], v[98:99], s[16:17], -v[201:202]
	v_add_f64 v[185:186], v[225:226], v[185:186]
	v_add_f64 v[50:51], v[50:51], v[54:55]
	v_add_f64 v[48:49], v[48:49], v[52:53]
	s_mov_b32 s55, 0x3feec746
	s_mov_b32 s54, s24
	v_mul_f64 v[221:222], v[122:123], s[18:19]
	v_add_f64 v[52:53], v[205:206], v[56:57]
	v_add_f64 v[54:55], v[207:208], v[58:59]
	;; [unrolled: 1-line block ×4, first 2 shown]
	v_fma_f64 v[60:61], v[98:99], s[38:39], v[191:192]
	v_add_f64 v[62:63], v[223:224], v[179:180]
	v_add_f64 v[70:71], v[70:71], v[181:182]
	v_mul_f64 v[181:182], v[154:155], s[26:27]
	v_mul_f64 v[195:196], v[124:125], s[24:25]
	v_fma_f64 v[207:208], v[82:83], s[40:41], v[219:220]
	v_fma_f64 v[191:192], v[98:99], s[38:39], -v[191:192]
	v_fma_f64 v[213:214], v[84:85], s[54:55], v[193:194]
	v_add_f64 v[68:69], v[189:190], v[68:69]
	v_fma_f64 v[189:190], v[88:89], s[26:27], v[197:198]
	v_fma_f64 v[193:194], v[84:85], s[24:25], v[193:194]
	v_fma_f64 v[197:198], v[88:89], s[26:27], -v[197:198]
	v_fma_f64 v[217:218], v[84:85], s[18:19], v[183:184]
	v_add_f64 v[185:186], v[199:200], v[185:186]
	v_add_f64 v[50:51], v[50:51], v[66:67]
	v_add_f64 v[48:49], v[48:49], v[64:65]
	v_fma_f64 v[64:65], v[88:89], s[8:9], v[187:188]
	v_mul_f64 v[66:67], v[176:177], s[36:37]
	v_add_f64 v[52:53], v[209:210], v[52:53]
	v_add_f64 v[54:55], v[215:216], v[54:55]
	;; [unrolled: 1-line block ×4, first 2 shown]
	v_mul_f64 v[179:180], v[154:155], s[22:23]
	v_add_f64 v[62:63], v[211:212], v[62:63]
	v_add_f64 v[60:61], v[60:61], v[70:71]
	v_mul_f64 v[205:206], v[124:125], s[48:49]
	v_mul_f64 v[201:202], v[172:173], s[34:35]
	v_fma_f64 v[183:184], v[84:85], s[50:51], v[183:184]
	v_fma_f64 v[187:188], v[88:89], s[8:9], -v[187:188]
	v_mul_f64 v[199:200], v[176:177], s[22:23]
	v_add_f64 v[68:69], v[207:208], v[68:69]
	v_fma_f64 v[207:208], v[86:87], s[54:55], v[181:182]
	v_fma_f64 v[181:182], v[86:87], s[24:25], v[181:182]
	v_mul_f64 v[70:71], v[176:177], s[26:27]
	v_mul_f64 v[215:216], v[164:165], s[22:23]
	v_add_f64 v[185:186], v[191:192], v[185:186]
	v_add_f64 v[46:47], v[50:51], v[46:47]
	v_add_f64 v[44:45], v[48:49], v[44:45]
	v_mul_f64 v[191:192], v[176:177], s[8:9]
	v_mul_f64 v[219:220], v[160:161], s[8:9]
	v_add_f64 v[48:49], v[213:214], v[52:53]
	v_add_f64 v[50:51], v[189:190], v[54:55]
	;; [unrolled: 1-line block ×4, first 2 shown]
	v_fma_f64 v[56:57], v[90:91], s[26:27], v[195:196]
	v_add_f64 v[58:59], v[217:218], v[62:63]
	v_add_f64 v[60:61], v[64:65], v[60:61]
	v_fma_f64 v[62:63], v[170:171], s[52:53], v[66:67]
	v_mul_f64 v[64:65], v[156:157], s[26:27]
	v_fma_f64 v[203:204], v[86:87], s[20:21], v[179:180]
	v_fma_f64 v[179:180], v[86:87], s[48:49], v[179:180]
	;; [unrolled: 1-line block ×3, first 2 shown]
	v_fma_f64 v[205:206], v[90:91], s[22:23], -v[205:206]
	v_fma_f64 v[193:194], v[166:167], s[36:37], v[201:202]
	v_mul_f64 v[197:198], v[102:103], s[54:55]
	v_add_f64 v[68:69], v[183:184], v[68:69]
	v_fma_f64 v[66:67], v[170:171], s[34:35], v[66:67]
	v_fma_f64 v[183:184], v[166:167], s[36:37], -v[201:202]
	v_fma_f64 v[195:196], v[90:91], s[26:27], -v[195:196]
	v_add_f64 v[185:186], v[187:188], v[185:186]
	v_add_f64 v[187:188], v[46:47], v[42:43]
	;; [unrolled: 1-line block ×3, first 2 shown]
	v_mul_f64 v[189:190], v[176:177], s[16:17]
	v_mul_f64 v[176:177], v[176:177], s[6:7]
	;; [unrolled: 1-line block ×5, first 2 shown]
	v_add_f64 v[42:43], v[207:208], v[58:59]
	v_add_f64 v[40:41], v[56:57], v[60:61]
	;; [unrolled: 1-line block ×3, first 2 shown]
	v_fma_f64 v[58:59], v[92:93], s[24:25], v[64:65]
	v_mul_f64 v[60:61], v[158:159], s[6:7]
	v_add_f64 v[46:47], v[203:204], v[48:49]
	v_add_f64 v[44:45], v[209:210], v[50:51]
	v_add_f64 v[50:51], v[179:180], v[52:53]
	v_add_f64 v[48:49], v[205:206], v[54:55]
	v_add_f64 v[193:194], v[24:25], v[193:194]
	v_fma_f64 v[203:204], v[94:95], s[26:27], v[197:198]
	v_mul_f64 v[205:206], v[106:107], s[4:5]
	v_add_f64 v[54:55], v[181:182], v[68:69]
	v_add_f64 v[66:67], v[26:27], v[66:67]
	v_fma_f64 v[64:65], v[92:93], s[54:55], v[64:65]
	v_add_f64 v[68:69], v[24:25], v[183:184]
	v_fma_f64 v[181:182], v[94:95], s[26:27], -v[197:198]
	v_add_f64 v[52:53], v[195:196], v[185:186]
	v_fma_f64 v[185:186], v[170:171], s[48:49], v[199:200]
	v_fma_f64 v[195:196], v[170:171], s[20:21], v[199:200]
	v_mul_f64 v[199:200], v[162:163], s[28:29]
	v_mul_f64 v[179:180], v[172:173], s[24:25]
	;; [unrolled: 1-line block ×5, first 2 shown]
	v_add_f64 v[56:57], v[58:59], v[56:57]
	v_fma_f64 v[58:59], v[96:97], s[42:43], v[60:61]
	v_mul_f64 v[207:208], v[110:111], s[30:31]
	v_fma_f64 v[60:61], v[96:97], s[4:5], v[60:61]
	v_fma_f64 v[183:184], v[170:171], s[54:55], v[70:71]
	;; [unrolled: 1-line block ×3, first 2 shown]
	v_add_f64 v[38:39], v[187:188], v[38:39]
	v_add_f64 v[193:194], v[203:204], v[193:194]
	v_fma_f64 v[203:204], v[104:105], s[6:7], v[205:206]
	v_add_f64 v[36:37], v[201:202], v[36:37]
	v_fma_f64 v[187:188], v[170:171], s[44:45], v[189:190]
	v_add_f64 v[64:65], v[64:65], v[66:67]
	v_fma_f64 v[189:190], v[170:171], s[14:15], v[189:190]
	v_add_f64 v[66:67], v[181:182], v[68:69]
	v_fma_f64 v[68:69], v[104:105], s[6:7], -v[205:206]
	v_fma_f64 v[201:202], v[170:171], s[50:51], v[191:192]
	v_mul_f64 v[209:210], v[166:167], s[6:7]
	v_fma_f64 v[170:171], v[170:171], s[18:19], v[191:192]
	v_add_f64 v[174:175], v[174:175], v[176:177]
	v_mul_f64 v[176:177], v[156:157], s[28:29]
	v_fma_f64 v[181:182], v[166:167], s[26:27], v[179:180]
	v_fma_f64 v[179:180], v[166:167], s[26:27], -v[179:180]
	v_mul_f64 v[191:192], v[102:103], s[0:1]
	v_add_f64 v[56:57], v[58:59], v[56:57]
	v_fma_f64 v[58:59], v[100:101], s[0:1], v[199:200]
	v_fma_f64 v[205:206], v[166:167], s[22:23], v[62:63]
	v_fma_f64 v[62:63], v[166:167], s[22:23], -v[62:63]
	v_fma_f64 v[211:212], v[166:167], s[16:17], v[197:198]
	v_fma_f64 v[197:198], v[166:167], s[16:17], -v[197:198]
	;; [unrolled: 2-line block ×3, first 2 shown]
	v_add_f64 v[172:173], v[203:204], v[193:194]
	v_fma_f64 v[193:194], v[112:113], s[28:29], v[207:208]
	v_mul_f64 v[203:204], v[116:117], s[48:49]
	v_add_f64 v[60:61], v[60:61], v[64:65]
	v_fma_f64 v[64:65], v[100:101], s[30:31], v[199:200]
	v_add_f64 v[66:67], v[68:69], v[66:67]
	v_fma_f64 v[68:69], v[112:113], s[28:29], -v[207:208]
	v_add_f64 v[168:169], v[209:210], -v[168:169]
	v_add_f64 v[183:184], v[26:27], v[183:184]
	v_mul_f64 v[207:208], v[158:159], s[8:9]
	v_fma_f64 v[199:200], v[92:93], s[30:31], v[176:177]
	v_add_f64 v[181:182], v[24:25], v[181:182]
	v_add_f64 v[70:71], v[26:27], v[70:71]
	v_fma_f64 v[209:210], v[94:95], s[28:29], v[191:192]
	v_add_f64 v[179:180], v[24:25], v[179:180]
	v_add_f64 v[56:57], v[58:59], v[56:57]
	;; [unrolled: 3-line block ×3, first 2 shown]
	v_add_f64 v[211:212], v[24:25], v[211:212]
	v_add_f64 v[197:198], v[24:25], v[197:198]
	;; [unrolled: 1-line block ×3, first 2 shown]
	v_mul_f64 v[227:228], v[138:139], s[40:41]
	v_add_f64 v[172:173], v[193:194], v[172:173]
	v_fma_f64 v[193:194], v[114:115], s[22:23], v[203:204]
	v_fma_f64 v[176:177], v[92:93], s[0:1], v[176:177]
	v_add_f64 v[60:61], v[64:65], v[60:61]
	v_fma_f64 v[64:65], v[108:109], s[48:49], v[215:216]
	v_add_f64 v[66:67], v[68:69], v[66:67]
	v_fma_f64 v[68:69], v[114:115], s[22:23], -v[203:204]
	v_mul_f64 v[203:204], v[162:163], s[16:17]
	v_mul_f64 v[215:216], v[110:111], s[14:15]
	v_add_f64 v[183:184], v[199:200], v[183:184]
	v_fma_f64 v[199:200], v[96:97], s[18:19], v[207:208]
	v_add_f64 v[166:167], v[24:25], v[166:167]
	v_add_f64 v[181:182], v[209:210], v[181:182]
	v_fma_f64 v[209:210], v[104:105], s[8:9], v[217:218]
	v_fma_f64 v[191:192], v[94:95], s[28:29], -v[191:192]
	v_add_f64 v[56:57], v[58:59], v[56:57]
	v_fma_f64 v[58:59], v[82:83], s[50:51], v[219:220]
	v_add_f64 v[24:25], v[24:25], v[168:169]
	v_mul_f64 v[168:169], v[102:103], s[40:41]
	v_add_f64 v[185:186], v[26:27], v[185:186]
	v_add_f64 v[195:196], v[26:27], v[195:196]
	;; [unrolled: 1-line block ×5, first 2 shown]
	v_fma_f64 v[193:194], v[98:99], s[8:9], v[221:222]
	v_add_f64 v[201:202], v[26:27], v[201:202]
	v_add_f64 v[60:61], v[64:65], v[60:61]
	v_fma_f64 v[64:65], v[82:83], s[18:19], v[219:220]
	v_add_f64 v[66:67], v[68:69], v[66:67]
	v_fma_f64 v[68:69], v[98:99], s[8:9], -v[221:222]
	v_add_f64 v[170:171], v[26:27], v[170:171]
	v_mul_f64 v[219:220], v[164:165], s[38:39]
	v_add_f64 v[183:184], v[199:200], v[183:184]
	v_fma_f64 v[199:200], v[100:101], s[44:45], v[203:204]
	v_mul_f64 v[221:222], v[116:117], s[40:41]
	v_add_f64 v[181:182], v[209:210], v[181:182]
	v_fma_f64 v[209:210], v[112:113], s[16:17], v[215:216]
	v_add_f64 v[26:27], v[26:27], v[174:175]
	v_add_f64 v[56:57], v[58:59], v[56:57]
	v_fma_f64 v[58:59], v[84:85], s[46:47], v[223:224]
	v_add_f64 v[34:35], v[38:39], v[34:35]
	v_mul_f64 v[174:175], v[158:159], s[26:27]
	v_add_f64 v[70:71], v[176:177], v[70:71]
	v_fma_f64 v[176:177], v[96:97], s[50:51], v[207:208]
	v_add_f64 v[179:180], v[191:192], v[179:180]
	v_fma_f64 v[191:192], v[104:105], s[8:9], -v[217:218]
	v_add_f64 v[38:39], v[193:194], v[172:173]
	v_fma_f64 v[172:173], v[92:93], s[40:41], v[225:226]
	v_fma_f64 v[193:194], v[88:89], s[38:39], v[227:228]
	v_add_f64 v[60:61], v[64:65], v[60:61]
	v_fma_f64 v[64:65], v[84:85], s[40:41], v[223:224]
	v_add_f64 v[66:67], v[68:69], v[66:67]
	v_fma_f64 v[68:69], v[88:89], s[38:39], -v[227:228]
	v_add_f64 v[32:33], v[36:37], v[32:33]
	v_fma_f64 v[36:37], v[92:93], s[46:47], v[225:226]
	v_mul_f64 v[207:208], v[106:107], s[54:55]
	v_add_f64 v[183:184], v[199:200], v[183:184]
	v_fma_f64 v[199:200], v[108:109], s[46:47], v[219:220]
	v_mul_f64 v[223:224], v[160:161], s[22:23]
	v_add_f64 v[181:182], v[209:210], v[181:182]
	v_fma_f64 v[209:210], v[114:115], s[38:39], v[221:222]
	v_add_f64 v[56:57], v[58:59], v[56:57]
	v_fma_f64 v[58:59], v[94:95], s[38:39], v[168:169]
	v_fma_f64 v[168:169], v[94:95], s[38:39], -v[168:169]
	v_mul_f64 v[217:218], v[122:123], s[48:49]
	v_mul_f64 v[225:226], v[162:163], s[6:7]
	v_add_f64 v[70:71], v[176:177], v[70:71]
	v_fma_f64 v[176:177], v[100:101], s[14:15], v[203:204]
	v_add_f64 v[179:180], v[191:192], v[179:180]
	v_add_f64 v[172:173], v[172:173], v[195:196]
	v_fma_f64 v[195:196], v[96:97], s[54:55], v[174:175]
	v_add_f64 v[38:39], v[193:194], v[38:39]
	v_add_f64 v[60:61], v[64:65], v[60:61]
	v_fma_f64 v[191:192], v[112:113], s[16:17], -v[215:216]
	v_add_f64 v[64:65], v[68:69], v[66:67]
	v_mul_f64 v[66:67], v[156:157], s[36:37]
	v_add_f64 v[36:37], v[36:37], v[185:186]
	v_fma_f64 v[174:175], v[96:97], s[24:25], v[174:175]
	v_fma_f64 v[185:186], v[104:105], s[26:27], v[207:208]
	v_mul_f64 v[193:194], v[110:111], s[42:43]
	v_add_f64 v[68:69], v[199:200], v[183:184]
	v_fma_f64 v[183:184], v[82:83], s[20:21], v[223:224]
	v_add_f64 v[181:182], v[209:210], v[181:182]
	v_mul_f64 v[203:204], v[164:165], s[16:17]
	v_add_f64 v[58:59], v[58:59], v[205:206]
	v_add_f64 v[62:63], v[168:169], v[62:63]
	v_fma_f64 v[168:169], v[104:105], s[26:27], -v[207:208]
	v_mul_f64 v[207:208], v[102:103], s[34:35]
	v_fma_f64 v[199:200], v[98:99], s[22:23], v[217:218]
	v_add_f64 v[28:29], v[32:33], v[28:29]
	v_mul_f64 v[205:206], v[158:159], s[38:39]
	v_add_f64 v[70:71], v[176:177], v[70:71]
	v_add_f64 v[172:173], v[195:196], v[172:173]
	v_fma_f64 v[195:196], v[100:101], s[42:43], v[225:226]
	v_fma_f64 v[176:177], v[108:109], s[40:41], v[219:220]
	v_add_f64 v[179:180], v[191:192], v[179:180]
	v_fma_f64 v[191:192], v[114:115], s[38:39], -v[221:222]
	v_fma_f64 v[32:33], v[92:93], s[52:53], v[66:67]
	v_fma_f64 v[66:67], v[92:93], s[34:35], v[66:67]
	v_add_f64 v[36:37], v[174:175], v[36:37]
	v_fma_f64 v[174:175], v[100:101], s[4:5], v[225:226]
	v_mul_f64 v[215:216], v[116:117], s[14:15]
	v_add_f64 v[30:31], v[34:35], v[30:31]
	v_mul_f64 v[34:35], v[152:153], s[6:7]
	v_add_f64 v[68:69], v[183:184], v[68:69]
	;; [unrolled: 2-line block ×3, first 2 shown]
	v_fma_f64 v[185:186], v[112:113], s[6:7], v[193:194]
	v_add_f64 v[62:63], v[168:169], v[62:63]
	v_fma_f64 v[168:169], v[112:113], s[6:7], -v[193:194]
	v_fma_f64 v[221:222], v[94:95], s[36:37], v[207:208]
	v_add_f64 v[181:182], v[199:200], v[181:182]
	v_mul_f64 v[199:200], v[160:161], s[28:29]
	v_fma_f64 v[207:208], v[94:95], s[36:37], -v[207:208]
	v_mul_f64 v[193:194], v[162:163], s[26:27]
	v_add_f64 v[172:173], v[195:196], v[172:173]
	v_fma_f64 v[195:196], v[108:109], s[14:15], v[203:204]
	v_add_f64 v[70:71], v[176:177], v[70:71]
	v_fma_f64 v[176:177], v[82:83], s[48:49], v[223:224]
	;; [unrolled: 2-line block ×4, first 2 shown]
	v_mul_f64 v[205:206], v[106:107], s[46:47]
	v_add_f64 v[179:180], v[191:192], v[179:180]
	v_fma_f64 v[191:192], v[98:99], s[22:23], -v[217:218]
	v_add_f64 v[36:37], v[174:175], v[36:37]
	v_fma_f64 v[174:175], v[108:109], s[44:45], v[203:204]
	v_mul_f64 v[203:204], v[122:123], s[30:31]
	v_add_f64 v[58:59], v[185:186], v[58:59]
	v_fma_f64 v[185:186], v[114:115], s[16:17], v[215:216]
	v_add_f64 v[62:63], v[168:169], v[62:63]
	v_fma_f64 v[168:169], v[114:115], s[16:17], -v[215:216]
	v_add_f64 v[211:212], v[221:222], v[211:212]
	v_mul_f64 v[221:222], v[156:157], s[22:23]
	v_fma_f64 v[209:210], v[84:85], s[42:43], v[34:35]
	v_fma_f64 v[219:220], v[88:89], s[6:7], v[183:184]
	v_mul_f64 v[223:224], v[110:111], s[54:55]
	v_add_f64 v[172:173], v[195:196], v[172:173]
	v_fma_f64 v[195:196], v[82:83], s[30:31], v[199:200]
	v_add_f64 v[70:71], v[176:177], v[70:71]
	v_fma_f64 v[34:35], v[84:85], s[4:5], v[34:35]
	v_mul_f64 v[156:157], v[156:157], s[8:9]
	v_add_f64 v[22:23], v[30:31], v[22:23]
	v_add_f64 v[66:67], v[189:190], v[66:67]
	v_fma_f64 v[189:190], v[104:105], s[38:39], v[205:206]
	v_add_f64 v[20:21], v[28:29], v[20:21]
	v_add_f64 v[176:177], v[191:192], v[179:180]
	v_fma_f64 v[179:180], v[88:89], s[6:7], -v[183:184]
	v_add_f64 v[36:37], v[174:175], v[36:37]
	v_fma_f64 v[174:175], v[82:83], s[0:1], v[199:200]
	v_add_f64 v[183:184], v[207:208], v[197:198]
	v_add_f64 v[58:59], v[185:186], v[58:59]
	v_fma_f64 v[185:186], v[104:105], s[38:39], -v[205:206]
	v_add_f64 v[62:63], v[168:169], v[62:63]
	v_fma_f64 v[168:169], v[98:99], s[28:29], -v[203:204]
	v_fma_f64 v[197:198], v[92:93], s[48:49], v[221:222]
	v_mul_f64 v[199:200], v[158:159], s[36:37]
	v_mul_f64 v[205:206], v[94:95], s[8:9]
	;; [unrolled: 1-line block ×3, first 2 shown]
	v_add_f64 v[32:33], v[187:188], v[32:33]
	v_fma_f64 v[187:188], v[100:101], s[24:25], v[193:194]
	v_fma_f64 v[193:194], v[100:101], s[54:55], v[193:194]
	v_add_f64 v[28:29], v[34:35], v[70:71]
	v_fma_f64 v[70:71], v[112:113], s[26:27], -v[223:224]
	v_fma_f64 v[92:93], v[92:93], s[20:21], v[221:222]
	v_mul_f64 v[158:159], v[158:159], s[16:17]
	v_add_f64 v[132:133], v[132:133], v[156:157]
	v_mul_f64 v[156:157], v[104:105], s[16:17]
	v_add_f64 v[18:19], v[22:23], v[18:19]
	v_add_f64 v[102:103], v[179:180], v[176:177]
	v_mul_f64 v[176:177], v[154:155], s[16:17]
	v_add_f64 v[36:37], v[174:175], v[36:37]
	;; [unrolled: 3-line block ×3, first 2 shown]
	v_add_f64 v[189:190], v[189:190], v[211:212]
	v_add_f64 v[62:63], v[168:169], v[62:63]
	;; [unrolled: 1-line block ×3, first 2 shown]
	v_fma_f64 v[174:175], v[96:97], s[52:53], v[199:200]
	v_add_f64 v[126:127], v[205:206], -v[126:127]
	v_fma_f64 v[16:17], v[94:95], s[22:23], -v[30:31]
	v_fma_f64 v[30:31], v[94:95], s[22:23], v[30:31]
	v_mul_f64 v[183:184], v[112:113], s[22:23]
	v_add_f64 v[66:67], v[193:194], v[66:67]
	v_fma_f64 v[193:194], v[112:113], s[26:27], v[223:224]
	v_mul_f64 v[106:107], v[162:163], s[38:39]
	v_fma_f64 v[96:97], v[96:97], s[34:35], v[199:200]
	v_add_f64 v[92:93], v[92:93], v[170:171]
	v_add_f64 v[140:141], v[140:141], v[158:159]
	;; [unrolled: 1-line block ×3, first 2 shown]
	v_add_f64 v[128:129], v[156:157], -v[128:129]
	v_mul_f64 v[110:111], v[110:111], s[40:41]
	v_mul_f64 v[215:216], v[164:165], s[8:9]
	;; [unrolled: 1-line block ×3, first 2 shown]
	v_fma_f64 v[191:192], v[98:99], s[28:29], v[203:204]
	v_fma_f64 v[185:186], v[104:105], s[36:37], -v[20:21]
	v_add_f64 v[34:35], v[70:71], v[34:35]
	v_mul_f64 v[70:71], v[162:163], s[22:23]
	v_fma_f64 v[104:105], v[104:105], s[36:37], v[20:21]
	v_mul_f64 v[162:163], v[164:165], s[26:27]
	v_add_f64 v[168:169], v[174:175], v[168:169]
	v_fma_f64 v[174:175], v[86:87], s[14:15], v[176:177]
	v_fma_f64 v[176:177], v[86:87], s[44:45], v[176:177]
	v_add_f64 v[24:25], v[126:127], v[24:25]
	v_add_f64 v[166:167], v[16:17], v[166:167]
	;; [unrolled: 1-line block ×4, first 2 shown]
	v_mul_f64 v[164:165], v[164:165], s[28:29]
	v_fma_f64 v[189:190], v[100:101], s[46:47], v[106:107]
	v_fma_f64 v[100:101], v[100:101], s[40:41], v[106:107]
	v_add_f64 v[92:93], v[96:97], v[92:93]
	v_add_f64 v[26:27], v[140:141], v[26:27]
	;; [unrolled: 1-line block ×3, first 2 shown]
	v_mul_f64 v[170:171], v[98:99], s[36:37]
	v_fma_f64 v[187:188], v[108:109], s[18:19], v[215:216]
	v_fma_f64 v[203:204], v[108:109], s[50:51], v[215:216]
	v_mul_f64 v[158:159], v[160:161], s[36:37]
	v_add_f64 v[94:95], v[94:95], -v[142:143]
	v_mul_f64 v[217:218], v[152:153], s[36:37]
	v_add_f64 v[70:71], v[146:147], v[70:71]
	v_mul_f64 v[156:157], v[88:89], s[28:29]
	v_add_f64 v[148:149], v[148:149], v[162:163]
	;; [unrolled: 2-line block ×3, first 2 shown]
	v_add_f64 v[20:21], v[176:177], v[60:61]
	v_add_f64 v[60:61], v[183:184], -v[134:135]
	v_add_f64 v[24:25], v[128:129], v[24:25]
	v_mul_f64 v[128:129], v[116:117], s[50:51]
	v_add_f64 v[140:141], v[185:186], v[166:167]
	v_fma_f64 v[166:167], v[112:113], s[38:39], -v[110:111]
	v_mul_f64 v[116:117], v[116:117], s[0:1]
	v_fma_f64 v[110:111], v[112:113], s[38:39], v[110:111]
	v_add_f64 v[30:31], v[104:105], v[30:31]
	v_fma_f64 v[104:105], v[108:109], s[30:31], v[164:165]
	v_fma_f64 v[108:109], v[108:109], s[0:1], v[164:165]
	v_add_f64 v[92:93], v[100:101], v[92:93]
	v_mul_f64 v[100:101], v[160:161], s[6:7]
	v_mul_f64 v[160:161], v[160:161], s[26:27]
	v_add_f64 v[168:169], v[189:190], v[168:169]
	v_add_f64 v[150:151], v[150:151], v[158:159]
	v_add_f64 v[144:145], v[170:171], -v[144:145]
	v_add_f64 v[26:27], v[70:71], v[26:27]
	v_mul_f64 v[112:113], v[138:139], s[52:53]
	v_mul_f64 v[158:159], v[138:139], s[20:21]
	;; [unrolled: 1-line block ×3, first 2 shown]
	v_add_f64 v[66:67], v[203:204], v[66:67]
	v_add_f64 v[32:33], v[187:188], v[32:33]
	;; [unrolled: 1-line block ×4, first 2 shown]
	v_mul_f64 v[60:61], v[122:123], s[4:5]
	v_mul_f64 v[122:123], v[122:123], s[54:55]
	v_add_f64 v[140:141], v[166:167], v[140:141]
	v_fma_f64 v[166:167], v[114:115], s[8:9], -v[128:129]
	v_fma_f64 v[183:184], v[114:115], s[28:29], -v[116:117]
	v_fma_f64 v[128:129], v[114:115], s[8:9], v[128:129]
	v_fma_f64 v[114:115], v[114:115], s[28:29], v[116:117]
	v_add_f64 v[30:31], v[110:111], v[30:31]
	v_add_f64 v[92:93], v[108:109], v[92:93]
	v_mul_f64 v[108:109], v[152:153], s[22:23]
	v_mul_f64 v[152:153], v[152:153], s[16:17]
	v_fma_f64 v[170:171], v[82:83], s[54:55], v[160:161]
	v_fma_f64 v[110:111], v[82:83], s[4:5], v[100:101]
	;; [unrolled: 1-line block ×3, first 2 shown]
	v_add_f64 v[26:27], v[148:149], v[26:27]
	v_fma_f64 v[82:83], v[82:83], s[24:25], v[160:161]
	v_add_f64 v[104:105], v[104:105], v[168:169]
	v_mul_f64 v[96:97], v[90:91], s[38:39]
	v_mul_f64 v[146:147], v[154:155], s[38:39]
	v_add_f64 v[106:107], v[136:137], v[106:107]
	v_add_f64 v[130:131], v[156:157], -v[130:131]
	v_add_f64 v[24:25], v[94:95], v[24:25]
	v_mul_f64 v[132:133], v[124:125], s[44:45]
	v_mul_f64 v[126:127], v[154:155], s[36:37]
	;; [unrolled: 1-line block ×3, first 2 shown]
	v_add_f64 v[34:35], v[166:167], v[34:35]
	v_add_f64 v[140:141], v[183:184], v[140:141]
	v_fma_f64 v[166:167], v[98:99], s[26:27], -v[122:123]
	v_fma_f64 v[183:184], v[98:99], s[6:7], -v[60:61]
	v_add_f64 v[128:129], v[128:129], v[179:180]
	v_fma_f64 v[60:61], v[98:99], s[6:7], v[60:61]
	v_fma_f64 v[98:99], v[98:99], s[26:27], v[122:123]
	v_add_f64 v[30:31], v[114:115], v[30:31]
	v_fma_f64 v[114:115], v[84:85], s[44:45], v[152:153]
	v_add_f64 v[92:93], v[170:171], v[92:93]
	v_mul_f64 v[134:135], v[154:155], s[8:9]
	v_add_f64 v[26:27], v[150:151], v[26:27]
	v_mul_f64 v[70:71], v[124:125], s[50:51]
	v_mul_f64 v[94:95], v[154:155], s[28:29]
	;; [unrolled: 1-line block ×5, first 2 shown]
	v_fma_f64 v[122:123], v[88:89], s[16:17], -v[138:139]
	v_add_f64 v[18:19], v[144:145], v[24:25]
	v_add_f64 v[66:67], v[110:111], v[66:67]
	v_fma_f64 v[110:111], v[84:85], s[20:21], v[108:109]
	v_fma_f64 v[160:161], v[88:89], s[22:23], -v[158:159]
	v_add_f64 v[172:173], v[195:196], v[172:173]
	v_fma_f64 v[195:196], v[84:85], s[52:53], v[217:218]
	v_add_f64 v[22:23], v[166:167], v[140:141]
	v_add_f64 v[24:25], v[183:184], v[34:35]
	v_fma_f64 v[116:117], v[88:89], s[36:37], v[112:113]
	v_fma_f64 v[112:113], v[88:89], s[36:37], -v[112:113]
	v_add_f64 v[58:59], v[191:192], v[58:59]
	v_fma_f64 v[176:177], v[84:85], s[34:35], v[217:218]
	v_fma_f64 v[34:35], v[84:85], s[48:49], v[108:109]
	v_add_f64 v[32:33], v[100:101], v[32:33]
	v_fma_f64 v[100:101], v[88:89], s[22:23], v[158:159]
	v_add_f64 v[60:61], v[60:61], v[128:129]
	;; [unrolled: 2-line block ×4, first 2 shown]
	v_add_f64 v[10:11], v[14:15], v[10:11]
	v_add_f64 v[14:15], v[12:13], v[8:9]
	v_add_f64 v[92:93], v[114:115], v[92:93]
	v_add_f64 v[114:115], v[120:121], v[146:147]
	v_add_f64 v[26:27], v[106:107], v[26:27]
	v_add_f64 v[96:97], v[96:97], -v[118:119]
	v_add_f64 v[18:19], v[130:131], v[18:19]
	v_fma_f64 v[164:165], v[86:87], s[52:53], v[126:127]
	v_fma_f64 v[126:127], v[86:87], s[34:35], v[126:127]
	v_fma_f64 v[98:99], v[86:87], s[42:43], v[154:155]
	v_fma_f64 v[104:105], v[90:91], s[6:7], -v[124:125]
	v_add_f64 v[22:23], v[122:123], v[22:23]
	v_fma_f64 v[108:109], v[86:87], s[30:31], v[94:95]
	v_add_f64 v[66:67], v[110:111], v[66:67]
	v_fma_f64 v[110:111], v[90:91], s[28:29], -v[179:180]
	v_add_f64 v[106:107], v[160:161], v[24:25]
	v_add_f64 v[172:173], v[195:196], v[172:173]
	v_fma_f64 v[142:143], v[86:87], s[18:19], v[134:135]
	v_fma_f64 v[134:135], v[86:87], s[50:51], v[134:135]
	v_fma_f64 v[148:149], v[90:91], s[8:9], -v[70:71]
	v_add_f64 v[62:63], v[112:113], v[62:63]
	v_add_f64 v[16:17], v[174:175], v[56:57]
	v_fma_f64 v[174:175], v[90:91], s[36:37], -v[187:188]
	v_fma_f64 v[56:57], v[90:91], s[16:17], v[132:133]
	v_fma_f64 v[132:133], v[90:91], s[16:17], -v[132:133]
	v_add_f64 v[68:69], v[209:210], v[68:69]
	v_add_f64 v[181:182], v[219:220], v[181:182]
	v_fma_f64 v[162:163], v[90:91], s[36:37], v[187:188]
	v_add_f64 v[112:113], v[176:177], v[36:37]
	v_fma_f64 v[70:71], v[90:91], s[8:9], v[70:71]
	;; [unrolled: 2-line block ×6, first 2 shown]
	v_add_f64 v[88:89], v[88:89], v[30:31]
	v_add_f64 v[36:37], v[10:11], v[6:7]
	;; [unrolled: 1-line block ×23, first 2 shown]
	v_lshl_add_u32 v4, v74, 8, v178
	ds_write_b128 v4, v[34:37]
	ds_write_b128 v4, v[30:33] offset:16
	ds_write_b128 v4, v[26:29] offset:32
	;; [unrolled: 1-line block ×16, first 2 shown]
.LBB0_21:
	s_or_b32 exec_lo, exec_lo, s33
	v_add_nc_u16 v88, v74, 51
	v_add_nc_u16 v87, v74, 0x66
	;; [unrolled: 1-line block ×3, first 2 shown]
	v_and_b32_e32 v4, 0xff, v74
	v_add_nc_u32_e32 v82, 0x132, v74
	v_and_b32_e32 v5, 0xff, v88
	v_add_nc_u16 v84, v74, 0xcc
	v_mov_b32_e32 v12, 0xf0f1
	v_and_b32_e32 v6, 0xff, v89
	v_mul_lo_u16 v4, 0xf1, v4
	v_mul_lo_u16 v91, 0xf1, v5
	v_and_b32_e32 v5, 0xff, v87
	v_and_b32_e32 v85, 0xff, v84
	v_mul_u32_u24_sdwa v8, v82, v12 dst_sel:DWORD dst_unused:UNUSED_PAD src0_sel:WORD_0 src1_sel:DWORD
	v_add_nc_u32_e32 v83, 0xff, v74
	v_mov_b32_e32 v86, 4
	v_mul_lo_u16 v90, 0xf1, v5
	v_mul_lo_u16 v93, 0xf1, v6
	v_add_nc_u32_e32 v75, 0x165, v74
	v_lshrrev_b16 v138, 12, v4
	v_lshrrev_b16 v139, 12, v91
	;; [unrolled: 1-line block ×3, first 2 shown]
	v_lshrrev_b32_e32 v143, 20, v8
	v_mul_lo_u16 v92, 0xf1, v85
	v_lshrrev_b16 v145, 12, v93
	v_mul_lo_u16 v4, v138, 17
	v_mul_lo_u16 v7, v140, 17
	;; [unrolled: 1-line block ×4, first 2 shown]
	v_lshrrev_b16 v146, 12, v92
	v_mul_lo_u16 v15, v145, 17
	v_sub_nc_u16 v13, v87, v7
	v_sub_nc_u16 v4, v74, v4
	;; [unrolled: 1-line block ×3, first 2 shown]
	s_waitcnt lgkmcnt(0)
	s_barrier
	v_lshlrev_b32_sdwa v144, v86, v13 dst_sel:DWORD dst_unused:UNUSED_PAD src0_sel:DWORD src1_sel:BYTE_0
	v_mul_u32_u24_sdwa v13, v83, v12 dst_sel:DWORD dst_unused:UNUSED_PAD src0_sel:WORD_0 src1_sel:DWORD
	v_mul_u32_u24_sdwa v12, v75, v12 dst_sel:DWORD dst_unused:UNUSED_PAD src0_sel:WORD_0 src1_sel:DWORD
	v_lshlrev_b32_sdwa v141, v86, v4 dst_sel:DWORD dst_unused:UNUSED_PAD src0_sel:DWORD src1_sel:BYTE_0
	v_lshlrev_b32_sdwa v142, v86, v5 dst_sel:DWORD dst_unused:UNUSED_PAD src0_sel:DWORD src1_sel:BYTE_0
	buffer_gl0_inv
	v_lshrrev_b32_e32 v147, 20, v13
	v_lshrrev_b32_e32 v148, 20, v12
	v_sub_nc_u16 v13, v82, v14
	v_mul_lo_u16 v12, v146, 17
	v_sub_nc_u16 v14, v89, v15
	v_mul_lo_u16 v15, v147, 17
	v_mul_lo_u16 v16, v148, 17
	v_lshlrev_b32_sdwa v149, v86, v13 dst_sel:DWORD dst_unused:UNUSED_PAD src0_sel:DWORD src1_sel:WORD_0
	v_sub_nc_u16 v17, v84, v12
	v_lshlrev_b32_sdwa v150, v86, v14 dst_sel:DWORD dst_unused:UNUSED_PAD src0_sel:DWORD src1_sel:BYTE_0
	v_sub_nc_u16 v20, v83, v15
	s_clause 0x1
	global_load_dwordx4 v[4:7], v141, s[12:13]
	global_load_dwordx4 v[8:11], v142, s[12:13]
	v_sub_nc_u16 v24, v75, v16
	global_load_dwordx4 v[12:15], v149, s[12:13]
	v_lshlrev_b32_sdwa v151, v86, v17 dst_sel:DWORD dst_unused:UNUSED_PAD src0_sel:DWORD src1_sel:BYTE_0
	global_load_dwordx4 v[16:19], v144, s[12:13]
	v_lshlrev_b32_sdwa v152, v86, v20 dst_sel:DWORD dst_unused:UNUSED_PAD src0_sel:DWORD src1_sel:WORD_0
	global_load_dwordx4 v[20:23], v150, s[12:13]
	v_lshlrev_b32_sdwa v153, v86, v24 dst_sel:DWORD dst_unused:UNUSED_PAD src0_sel:DWORD src1_sel:WORD_0
	s_clause 0x2
	global_load_dwordx4 v[24:27], v151, s[12:13]
	global_load_dwordx4 v[28:31], v152, s[12:13]
	;; [unrolled: 1-line block ×3, first 2 shown]
	ds_read_b128 v[36:39], v178 offset:6528
	ds_read_b128 v[40:43], v178 offset:11424
	;; [unrolled: 1-line block ×8, first 2 shown]
	ds_read_b128 v[68:71], v178
	ds_read_b128 v[94:97], v178 offset:816
	ds_read_b128 v[98:101], v178 offset:1632
	;; [unrolled: 1-line block ×7, first 2 shown]
	v_mov_b32_e32 v154, 0x220
	s_waitcnt vmcnt(0) lgkmcnt(0)
	s_barrier
	buffer_gl0_inv
	v_cmp_gt_u32_e64 s0, 17, v74
	v_mul_f64 v[122:123], v[38:39], v[6:7]
	v_mul_f64 v[6:7], v[36:37], v[6:7]
	;; [unrolled: 1-line block ×16, first 2 shown]
	v_fma_f64 v[36:37], v[36:37], v[4:5], -v[122:123]
	v_fma_f64 v[4:5], v[38:39], v[4:5], v[6:7]
	v_fma_f64 v[6:7], v[44:45], v[8:9], -v[126:127]
	v_fma_f64 v[38:39], v[46:47], v[8:9], v[10:11]
	v_fma_f64 v[40:41], v[40:41], v[12:13], -v[124:125]
	v_fma_f64 v[44:45], v[48:49], v[16:17], -v[128:129]
	v_fma_f64 v[18:19], v[50:51], v[16:17], v[18:19]
	v_fma_f64 v[46:47], v[52:53], v[20:21], -v[130:131]
	v_fma_f64 v[22:23], v[54:55], v[20:21], v[22:23]
	;; [unrolled: 2-line block ×4, first 2 shown]
	v_fma_f64 v[42:43], v[42:43], v[12:13], v[14:15]
	v_fma_f64 v[52:53], v[64:65], v[32:33], -v[136:137]
	v_fma_f64 v[54:55], v[66:67], v[32:33], v[34:35]
	v_mul_u32_u24_sdwa v56, v138, v154 dst_sel:DWORD dst_unused:UNUSED_PAD src0_sel:WORD_0 src1_sel:DWORD
	v_mul_u32_u24_e32 v57, 0x220, v147
	v_mul_u32_u24_e32 v58, 0x220, v143
	;; [unrolled: 1-line block ×3, first 2 shown]
	v_mul_u32_u24_sdwa v122, v139, v154 dst_sel:DWORD dst_unused:UNUSED_PAD src0_sel:WORD_0 src1_sel:DWORD
	v_add3_u32 v126, 0, v56, v141
	v_add_f64 v[8:9], v[68:69], -v[36:37]
	v_add_f64 v[10:11], v[70:71], -v[4:5]
	;; [unrolled: 1-line block ×16, first 2 shown]
	v_add3_u32 v127, 0, v57, v152
	v_add3_u32 v128, 0, v58, v149
	;; [unrolled: 1-line block ×3, first 2 shown]
	v_mul_u32_u24_sdwa v123, v140, v154 dst_sel:DWORD dst_unused:UNUSED_PAD src0_sel:WORD_0 src1_sel:DWORD
	v_mul_u32_u24_sdwa v124, v145, v154 dst_sel:DWORD dst_unused:UNUSED_PAD src0_sel:WORD_0 src1_sel:DWORD
	;; [unrolled: 1-line block ×3, first 2 shown]
	v_fma_f64 v[36:37], v[68:69], 2.0, -v[8:9]
	v_fma_f64 v[38:39], v[70:71], 2.0, -v[10:11]
	;; [unrolled: 1-line block ×16, first 2 shown]
	v_add3_u32 v68, 0, v122, v142
	v_add3_u32 v69, 0, v123, v144
	;; [unrolled: 1-line block ×4, first 2 shown]
	ds_write_b128 v126, v[8:11] offset:272
	ds_write_b128 v126, v[36:39]
	ds_write_b128 v68, v[12:15] offset:272
	ds_write_b128 v68, v[40:43]
	ds_write_b128 v69, v[44:47]
	ds_write_b128 v69, v[16:19] offset:272
	ds_write_b128 v70, v[48:51]
	ds_write_b128 v70, v[20:23] offset:272
	ds_write_b128 v71, v[52:55]
	ds_write_b128 v71, v[24:27] offset:272
	ds_write_b128 v127, v[56:59]
	ds_write_b128 v127, v[28:31] offset:272
	ds_write_b128 v128, v[60:63]
	ds_write_b128 v128, v[32:35] offset:272
	ds_write_b128 v129, v[64:67]
	ds_write_b128 v129, v[4:7] offset:272
	s_waitcnt lgkmcnt(0)
	s_barrier
	buffer_gl0_inv
	ds_read_b128 v[12:15], v178
	ds_read_b128 v[28:31], v178 offset:816
	ds_read_b128 v[32:35], v178 offset:8704
	;; [unrolled: 1-line block ×14, first 2 shown]
                                        ; implicit-def: $vgpr10_vgpr11
	s_and_saveexec_b32 s1, s0
	s_cbranch_execz .LBB0_23
; %bb.22:
	ds_read_b128 v[4:7], v178 offset:4080
	ds_read_b128 v[0:3], v178 offset:8432
	;; [unrolled: 1-line block ×3, first 2 shown]
.LBB0_23:
	s_or_b32 exec_lo, exec_lo, s1
	v_subrev_nc_u32_e32 v94, 34, v74
	v_cmp_gt_u32_e64 s1, 34, v74
	v_lshrrev_b16 v127, 13, v91
	v_lshrrev_b16 v128, 13, v90
	v_mov_b32_e32 v91, 0
	v_mov_b32_e32 v111, 5
	v_cndmask_b32_e64 v129, v94, v74, s1
	v_mul_lo_u16 v95, v127, 34
	v_lshrrev_b16 v130, 13, v93
	v_lshrrev_b16 v132, 13, v92
	v_mov_b32_e32 v133, 0x660
	v_lshlrev_b32_e32 v90, 1, v129
	v_sub_nc_u16 v131, v88, v95
	v_mul_lo_u16 v88, v128, 34
	v_mul_lo_u16 v92, v130, 34
	;; [unrolled: 1-line block ×3, first 2 shown]
	v_lshlrev_b64 v[95:96], 4, v[90:91]
	v_lshlrev_b32_sdwa v93, v111, v131 dst_sel:DWORD dst_unused:UNUSED_PAD src0_sel:DWORD src1_sel:BYTE_0
	v_sub_nc_u16 v147, v87, v88
	v_sub_nc_u16 v148, v89, v92
	s_clause 0x1
	global_load_dwordx4 v[87:90], v93, s[12:13] offset:288
	global_load_dwordx4 v[91:94], v93, s[12:13] offset:272
	v_add_co_u32 v107, s1, s12, v95
	v_lshlrev_b32_sdwa v99, v111, v147 dst_sel:DWORD dst_unused:UNUSED_PAD src0_sel:DWORD src1_sel:BYTE_0
	v_add_co_ci_u32_e64 v108, s1, s13, v96, s1
	s_clause 0x1
	global_load_dwordx4 v[95:98], v99, s[12:13] offset:272
	global_load_dwordx4 v[99:102], v99, s[12:13] offset:288
	v_sub_nc_u16 v149, v84, v103
	s_clause 0x1
	global_load_dwordx4 v[103:106], v[107:108], off offset:272
	global_load_dwordx4 v[107:110], v[107:108], off offset:288
	v_lshlrev_b32_sdwa v115, v111, v148 dst_sel:DWORD dst_unused:UNUSED_PAD src0_sel:DWORD src1_sel:BYTE_0
	v_cmp_lt_u32_e64 s1, 33, v74
	v_mul_u32_u24_sdwa v150, v127, v133 dst_sel:DWORD dst_unused:UNUSED_PAD src0_sel:WORD_0 src1_sel:DWORD
	v_lshlrev_b32_sdwa v123, v111, v149 dst_sel:DWORD dst_unused:UNUSED_PAD src0_sel:DWORD src1_sel:BYTE_0
	s_clause 0x3
	global_load_dwordx4 v[111:114], v115, s[12:13] offset:272
	global_load_dwordx4 v[115:118], v115, s[12:13] offset:288
	;; [unrolled: 1-line block ×4, first 2 shown]
	v_mul_u32_u24_sdwa v151, v128, v133 dst_sel:DWORD dst_unused:UNUSED_PAD src0_sel:WORD_0 src1_sel:DWORD
	v_cndmask_b32_e64 v134, 0, 0x660, s1
	v_mul_u32_u24_sdwa v153, v132, v133 dst_sel:DWORD dst_unused:UNUSED_PAD src0_sel:WORD_0 src1_sel:DWORD
	v_lshlrev_b32_e32 v132, 4, v129
	v_mul_u32_u24_sdwa v152, v130, v133 dst_sel:DWORD dst_unused:UNUSED_PAD src0_sel:WORD_0 src1_sel:DWORD
	v_lshlrev_b32_sdwa v155, v86, v131 dst_sel:DWORD dst_unused:UNUSED_PAD src0_sel:DWORD src1_sel:BYTE_0
	s_mov_b32 s4, 0xe8584caa
	s_mov_b32 s5, 0x3febb67a
	v_add3_u32 v154, 0, v134, v132
	s_mov_b32 s7, 0xbfebb67a
	s_mov_b32 s6, s4
	s_waitcnt vmcnt(0) lgkmcnt(0)
	s_barrier
	buffer_gl0_inv
	v_mul_f64 v[129:130], v[54:55], v[89:90]
	v_mul_f64 v[127:128], v[70:71], v[93:94]
	;; [unrolled: 1-line block ×20, first 2 shown]
	v_fma_f64 v[68:69], v[68:69], v[91:92], -v[127:128]
	v_fma_f64 v[70:71], v[70:71], v[91:92], v[93:94]
	v_fma_f64 v[52:53], v[52:53], v[87:88], -v[129:130]
	v_fma_f64 v[54:55], v[54:55], v[87:88], v[89:90]
	v_lshlrev_b32_sdwa v127, v86, v147 dst_sel:DWORD dst_unused:UNUSED_PAD src0_sel:DWORD src1_sel:BYTE_0
	v_lshlrev_b32_sdwa v128, v86, v148 dst_sel:DWORD dst_unused:UNUSED_PAD src0_sel:DWORD src1_sel:BYTE_0
	v_fma_f64 v[48:49], v[48:49], v[95:96], -v[131:132]
	v_fma_f64 v[50:51], v[50:51], v[95:96], v[97:98]
	v_fma_f64 v[60:61], v[60:61], v[103:104], -v[135:136]
	v_fma_f64 v[32:33], v[32:33], v[107:108], -v[137:138]
	v_fma_f64 v[62:63], v[62:63], v[103:104], v[105:106]
	v_fma_f64 v[34:35], v[34:35], v[107:108], v[109:110]
	v_fma_f64 v[64:65], v[64:65], v[99:100], -v[133:134]
	v_fma_f64 v[66:67], v[66:67], v[99:100], v[101:102]
	v_fma_f64 v[56:57], v[56:57], v[111:112], -v[139:140]
	v_fma_f64 v[58:59], v[58:59], v[111:112], v[113:114]
	v_fma_f64 v[36:37], v[36:37], v[115:116], -v[141:142]
	v_fma_f64 v[38:39], v[38:39], v[115:116], v[117:118]
	v_fma_f64 v[44:45], v[44:45], v[119:120], -v[143:144]
	v_fma_f64 v[46:47], v[46:47], v[119:120], v[121:122]
	v_fma_f64 v[40:41], v[40:41], v[123:124], -v[145:146]
	v_fma_f64 v[42:43], v[42:43], v[123:124], v[125:126]
	v_lshlrev_b32_sdwa v129, v86, v149 dst_sel:DWORD dst_unused:UNUSED_PAD src0_sel:DWORD src1_sel:BYTE_0
	v_add_f64 v[86:87], v[28:29], v[68:69]
	v_add_f64 v[88:89], v[68:69], v[52:53]
	v_add_f64 v[90:91], v[70:71], -v[54:55]
	v_add_f64 v[92:93], v[30:31], v[70:71]
	v_add_f64 v[70:71], v[70:71], v[54:55]
	v_add_f64 v[94:95], v[24:25], v[48:49]
	v_add_f64 v[100:101], v[26:27], v[50:51]
	v_add_f64 v[68:69], v[68:69], -v[52:53]
	v_add_f64 v[102:103], v[60:61], v[32:33]
	v_add_f64 v[124:125], v[14:15], v[62:63]
	;; [unrolled: 5-line block ×3, first 2 shown]
	v_add_f64 v[108:109], v[56:57], v[36:37]
	v_add_f64 v[110:111], v[58:59], -v[38:39]
	v_add_f64 v[58:59], v[58:59], v[38:39]
	v_add_f64 v[120:121], v[22:23], v[46:47]
	;; [unrolled: 1-line block ×3, first 2 shown]
	v_add_f64 v[118:119], v[46:47], -v[42:43]
	v_add_f64 v[46:47], v[46:47], v[42:43]
	v_add_f64 v[106:107], v[48:49], -v[64:65]
	v_add_f64 v[48:49], v[16:17], v[56:57]
	;; [unrolled: 2-line block ×4, first 2 shown]
	v_add_f64 v[62:63], v[62:63], -v[34:35]
	v_add_f64 v[60:61], v[60:61], -v[32:33]
	v_fma_f64 v[102:103], v[102:103], -0.5, v[12:13]
	v_add_f64 v[12:13], v[86:87], v[52:53]
	v_fma_f64 v[52:53], v[104:105], -0.5, v[14:15]
	v_fma_f64 v[88:89], v[88:89], -0.5, v[28:29]
	;; [unrolled: 1-line block ×3, first 2 shown]
	v_add_f64 v[14:15], v[92:93], v[54:55]
	v_fma_f64 v[54:55], v[96:97], -0.5, v[24:25]
	v_add_f64 v[24:25], v[94:95], v[64:65]
	v_fma_f64 v[64:65], v[50:51], -0.5, v[26:27]
	;; [unrolled: 2-line block ×3, first 2 shown]
	v_fma_f64 v[86:87], v[58:59], -0.5, v[18:19]
	v_fma_f64 v[92:93], v[116:117], -0.5, v[20:21]
	;; [unrolled: 1-line block ×3, first 2 shown]
	v_add_f64 v[30:31], v[124:125], v[34:35]
	v_add_f64 v[22:23], v[120:121], v[42:43]
	;; [unrolled: 1-line block ×6, first 2 shown]
	v_fma_f64 v[40:41], v[62:63], s[4:5], v[102:103]
	v_fma_f64 v[44:45], v[62:63], s[6:7], v[102:103]
	;; [unrolled: 1-line block ×20, first 2 shown]
	v_add3_u32 v86, 0, v150, v155
	v_add3_u32 v87, 0, v151, v127
	;; [unrolled: 1-line block ×4, first 2 shown]
	ds_write_b128 v154, v[28:31]
	ds_write_b128 v154, v[40:43] offset:544
	ds_write_b128 v154, v[44:47] offset:1088
	ds_write_b128 v86, v[12:15]
	ds_write_b128 v86, v[32:35] offset:544
	ds_write_b128 v86, v[36:39] offset:1088
	;; [unrolled: 3-line block ×5, first 2 shown]
	s_and_saveexec_b32 s1, s0
	s_cbranch_execz .LBB0_25
; %bb.24:
	v_mov_b32_e32 v12, 0xf0f1
	v_mul_u32_u24_sdwa v12, v83, v12 dst_sel:DWORD dst_unused:UNUSED_PAD src0_sel:WORD_0 src1_sel:DWORD
	v_lshrrev_b32_e32 v12, 21, v12
	v_mul_lo_u16 v12, v12, 34
	v_sub_nc_u16 v12, v83, v12
	v_and_b32_e32 v24, 0xffff, v12
	v_lshlrev_b32_e32 v16, 5, v24
	s_clause 0x1
	global_load_dwordx4 v[12:15], v16, s[12:13] offset:272
	global_load_dwordx4 v[16:19], v16, s[12:13] offset:288
	s_waitcnt vmcnt(1)
	v_mul_f64 v[20:21], v[0:1], v[14:15]
	s_waitcnt vmcnt(0)
	v_mul_f64 v[22:23], v[8:9], v[18:19]
	v_mul_f64 v[14:15], v[2:3], v[14:15]
	;; [unrolled: 1-line block ×3, first 2 shown]
	v_fma_f64 v[2:3], v[2:3], v[12:13], v[20:21]
	v_fma_f64 v[10:11], v[10:11], v[16:17], v[22:23]
	v_fma_f64 v[0:1], v[0:1], v[12:13], -v[14:15]
	v_fma_f64 v[8:9], v[8:9], v[16:17], -v[18:19]
	v_add_f64 v[18:19], v[6:7], v[2:3]
	v_add_f64 v[12:13], v[2:3], v[10:11]
	v_add_f64 v[20:21], v[2:3], -v[10:11]
	v_add_f64 v[14:15], v[0:1], v[8:9]
	v_add_f64 v[16:17], v[0:1], -v[8:9]
	v_add_f64 v[0:1], v[4:5], v[0:1]
	v_add_f64 v[2:3], v[18:19], v[10:11]
	v_fma_f64 v[12:13], v[12:13], -0.5, v[6:7]
	v_fma_f64 v[4:5], v[14:15], -0.5, v[4:5]
	v_add_f64 v[0:1], v[0:1], v[8:9]
	v_fma_f64 v[10:11], v[16:17], s[6:7], v[12:13]
	v_fma_f64 v[6:7], v[16:17], s[4:5], v[12:13]
	;; [unrolled: 1-line block ×4, first 2 shown]
	v_lshl_add_u32 v12, v24, 4, 0
	ds_write_b128 v12, v[0:3] offset:11424
	ds_write_b128 v12, v[8:11] offset:11968
	;; [unrolled: 1-line block ×3, first 2 shown]
.LBB0_25:
	s_or_b32 exec_lo, exec_lo, s1
	v_mov_b32_e32 v4, 0xa0a1
	v_mul_lo_u16 v2, 0xa1, v85
	v_add_co_u32 v0, s0, s12, v78
	v_add_co_ci_u32_e64 v1, s0, s13, v79, s0
	v_mul_u32_u24_sdwa v6, v83, v4 dst_sel:DWORD dst_unused:UNUSED_PAD src0_sel:WORD_0 src1_sel:DWORD
	v_mul_u32_u24_sdwa v7, v82, v4 dst_sel:DWORD dst_unused:UNUSED_PAD src0_sel:WORD_0 src1_sel:DWORD
	v_lshrrev_b16 v5, 14, v2
	v_mul_u32_u24_sdwa v4, v75, v4 dst_sel:DWORD dst_unused:UNUSED_PAD src0_sel:WORD_0 src1_sel:DWORD
	v_add_co_u32 v2, s0, s12, v80
	v_lshrrev_b32_e32 v6, 22, v6
	v_add_co_ci_u32_e64 v3, s0, s13, v81, s0
	v_lshrrev_b32_e32 v7, 22, v7
	v_mul_lo_u16 v5, 0x66, v5
	v_lshrrev_b32_e32 v4, 22, v4
	v_add_co_u32 v90, s0, 0x800, v2
	v_mul_lo_u16 v6, 0x66, v6
	v_add_co_ci_u32_e64 v91, s0, 0, v3, s0
	v_mul_lo_u16 v13, 0x66, v7
	v_sub_nc_u16 v12, v84, v5
	v_mov_b32_e32 v16, 4
	v_mul_lo_u16 v15, 0x66, v4
	s_waitcnt lgkmcnt(0)
	s_barrier
	buffer_gl0_inv
	v_sub_nc_u16 v14, v83, v6
	s_clause 0x1
	global_load_dwordx4 v[4:7], v[0:1], off offset:1360
	global_load_dwordx4 v[8:11], v[90:91], off offset:128
	v_sub_nc_u16 v13, v82, v13
	v_lshlrev_b32_sdwa v112, v16, v12 dst_sel:DWORD dst_unused:UNUSED_PAD src0_sel:DWORD src1_sel:BYTE_0
	v_sub_nc_u16 v17, v75, v15
	v_lshlrev_b32_sdwa v75, v16, v14 dst_sel:DWORD dst_unused:UNUSED_PAD src0_sel:DWORD src1_sel:WORD_0
	v_lshlrev_b32_sdwa v113, v16, v13 dst_sel:DWORD dst_unused:UNUSED_PAD src0_sel:DWORD src1_sel:WORD_0
	global_load_dwordx4 v[12:15], v112, s[12:13] offset:1360
	v_lshlrev_b32_sdwa v114, v16, v17 dst_sel:DWORD dst_unused:UNUSED_PAD src0_sel:DWORD src1_sel:WORD_0
	s_clause 0x2
	global_load_dwordx4 v[16:19], v75, s[12:13] offset:1360
	global_load_dwordx4 v[20:23], v113, s[12:13] offset:1360
	;; [unrolled: 1-line block ×3, first 2 shown]
	ds_read_b128 v[28:31], v178 offset:6528
	ds_read_b128 v[32:35], v178 offset:8160
	;; [unrolled: 1-line block ×8, first 2 shown]
	ds_read_b128 v[60:63], v178
	ds_read_b128 v[64:67], v178 offset:816
	ds_read_b128 v[68:71], v178 offset:1632
	;; [unrolled: 1-line block ×5, first 2 shown]
	s_waitcnt vmcnt(5) lgkmcnt(13)
	v_mul_f64 v[92:93], v[30:31], v[6:7]
	v_mul_f64 v[94:95], v[28:29], v[6:7]
	s_waitcnt lgkmcnt(12)
	v_mul_f64 v[96:97], v[34:35], v[6:7]
	v_mul_f64 v[6:7], v[32:33], v[6:7]
	s_waitcnt vmcnt(4) lgkmcnt(11)
	v_mul_f64 v[98:99], v[38:39], v[10:11]
	v_mul_f64 v[100:101], v[36:37], v[10:11]
	s_waitcnt lgkmcnt(10)
	v_mul_f64 v[102:103], v[42:43], v[10:11]
	v_mul_f64 v[10:11], v[40:41], v[10:11]
	s_waitcnt vmcnt(3) lgkmcnt(9)
	v_mul_f64 v[104:105], v[46:47], v[14:15]
	v_mul_f64 v[14:15], v[44:45], v[14:15]
	s_waitcnt vmcnt(2) lgkmcnt(8)
	;; [unrolled: 3-line block ×4, first 2 shown]
	v_mul_f64 v[110:111], v[58:59], v[26:27]
	v_mul_f64 v[26:27], v[56:57], v[26:27]
	v_fma_f64 v[28:29], v[28:29], v[4:5], -v[92:93]
	v_fma_f64 v[30:31], v[30:31], v[4:5], v[94:95]
	v_fma_f64 v[32:33], v[32:33], v[4:5], -v[96:97]
	v_fma_f64 v[34:35], v[34:35], v[4:5], v[6:7]
	;; [unrolled: 2-line block ×8, first 2 shown]
	ds_read_b128 v[4:7], v178 offset:4896
	ds_read_b128 v[8:11], v178 offset:5712
	v_add_co_u32 v92, s0, 0x800, v0
	v_add_co_ci_u32_e64 v93, s0, 0, v1, s0
	s_waitcnt lgkmcnt(7)
	v_add_f64 v[12:13], v[60:61], -v[28:29]
	v_add_f64 v[14:15], v[62:63], -v[30:31]
	s_waitcnt lgkmcnt(5)
	v_add_f64 v[16:17], v[68:69], -v[32:33]
	v_add_f64 v[18:19], v[70:71], -v[34:35]
	;; [unrolled: 1-line block ×4, first 2 shown]
	s_waitcnt lgkmcnt(4)
	v_add_f64 v[24:25], v[78:79], -v[40:41]
	v_add_f64 v[26:27], v[80:81], -v[42:43]
	s_waitcnt lgkmcnt(3)
	v_add_f64 v[28:29], v[82:83], -v[44:45]
	v_add_f64 v[30:31], v[84:85], -v[46:47]
	;; [unrolled: 3-line block ×3, first 2 shown]
	v_add_co_u32 v94, s0, 0x1000, v2
	s_waitcnt lgkmcnt(1)
	v_add_f64 v[36:37], v[4:5], -v[52:53]
	v_add_f64 v[38:39], v[6:7], -v[54:55]
	s_waitcnt lgkmcnt(0)
	v_add_f64 v[40:41], v[8:9], -v[56:57]
	v_add_f64 v[42:43], v[10:11], -v[58:59]
	v_add_co_ci_u32_e64 v95, s0, 0, v3, s0
	v_add_nc_u32_e32 v96, 0, v112
	v_fma_f64 v[44:45], v[60:61], 2.0, -v[12:13]
	v_fma_f64 v[46:47], v[62:63], 2.0, -v[14:15]
	;; [unrolled: 1-line block ×12, first 2 shown]
	s_barrier
	buffer_gl0_inv
	v_fma_f64 v[4:5], v[4:5], 2.0, -v[36:37]
	v_fma_f64 v[6:7], v[6:7], 2.0, -v[38:39]
	;; [unrolled: 1-line block ×4, first 2 shown]
	v_add_nc_u32_e32 v68, 0, v75
	v_add_nc_u32_e32 v69, 0, v113
	;; [unrolled: 1-line block ×3, first 2 shown]
	ds_write_b128 v178, v[12:15] offset:1632
	ds_write_b128 v178, v[16:19] offset:4896
	ds_write_b128 v178, v[20:23] offset:2448
	ds_write_b128 v178, v[24:27] offset:5712
	ds_write_b128 v178, v[44:47]
	ds_write_b128 v178, v[48:51] offset:3264
	ds_write_b128 v178, v[52:55] offset:816
	;; [unrolled: 1-line block ×11, first 2 shown]
	s_waitcnt lgkmcnt(0)
	s_barrier
	buffer_gl0_inv
	s_clause 0x3
	global_load_dwordx4 v[4:7], v[92:93], off offset:944
	global_load_dwordx4 v[8:11], v[90:91], off offset:1760
	;; [unrolled: 1-line block ×4, first 2 shown]
	ds_read_b128 v[20:23], v178 offset:6528
	ds_read_b128 v[24:27], v178 offset:7344
	;; [unrolled: 1-line block ×8, first 2 shown]
	ds_read_b128 v[52:55], v178
	ds_read_b128 v[56:59], v178 offset:816
	ds_read_b128 v[60:63], v178 offset:1632
	;; [unrolled: 1-line block ×5, first 2 shown]
	v_add_co_u32 v0, s0, 0x1800, v0
	v_add_co_ci_u32_e64 v1, s0, 0, v1, s0
	s_waitcnt vmcnt(3) lgkmcnt(13)
	v_mul_f64 v[82:83], v[22:23], v[6:7]
	v_mul_f64 v[84:85], v[20:21], v[6:7]
	s_waitcnt vmcnt(2) lgkmcnt(12)
	v_mul_f64 v[86:87], v[26:27], v[10:11]
	v_mul_f64 v[88:89], v[24:25], v[10:11]
	;; [unrolled: 3-line block ×4, first 2 shown]
	s_waitcnt lgkmcnt(9)
	v_mul_f64 v[98:99], v[38:39], v[6:7]
	v_mul_f64 v[6:7], v[36:37], v[6:7]
	s_waitcnt lgkmcnt(8)
	v_mul_f64 v[100:101], v[42:43], v[10:11]
	v_mul_f64 v[10:11], v[40:41], v[10:11]
	;; [unrolled: 3-line block ×4, first 2 shown]
	v_fma_f64 v[20:21], v[20:21], v[4:5], -v[82:83]
	v_fma_f64 v[22:23], v[22:23], v[4:5], v[84:85]
	v_fma_f64 v[24:25], v[24:25], v[8:9], -v[86:87]
	v_fma_f64 v[26:27], v[26:27], v[8:9], v[88:89]
	;; [unrolled: 2-line block ×8, first 2 shown]
	ds_read_b128 v[4:7], v178 offset:4896
	ds_read_b128 v[8:11], v178 offset:5712
	v_add_co_u32 v82, s0, 0x1800, v2
	v_add_co_ci_u32_e64 v83, s0, 0, v3, s0
	s_waitcnt lgkmcnt(7)
	v_add_f64 v[12:13], v[52:53], -v[20:21]
	v_add_f64 v[14:15], v[54:55], -v[22:23]
	s_waitcnt lgkmcnt(6)
	v_add_f64 v[16:17], v[56:57], -v[24:25]
	v_add_f64 v[18:19], v[58:59], -v[26:27]
	;; [unrolled: 3-line block ×6, first 2 shown]
	s_waitcnt lgkmcnt(0)
	s_barrier
	v_add_f64 v[36:37], v[4:5], -v[44:45]
	v_add_f64 v[38:39], v[6:7], -v[46:47]
	;; [unrolled: 1-line block ×4, first 2 shown]
	buffer_gl0_inv
	v_fma_f64 v[44:45], v[52:53], 2.0, -v[12:13]
	v_fma_f64 v[46:47], v[54:55], 2.0, -v[14:15]
	;; [unrolled: 1-line block ×12, first 2 shown]
	v_add_co_u32 v68, s0, 0x2000, v2
	v_fma_f64 v[4:5], v[4:5], 2.0, -v[36:37]
	v_fma_f64 v[6:7], v[6:7], 2.0, -v[38:39]
	v_fma_f64 v[8:9], v[8:9], 2.0, -v[40:41]
	v_fma_f64 v[10:11], v[10:11], 2.0, -v[42:43]
	v_add_co_ci_u32_e64 v69, s0, 0, v3, s0
	ds_write_b128 v178, v[12:15] offset:3264
	ds_write_b128 v178, v[16:19] offset:4080
	;; [unrolled: 1-line block ×8, first 2 shown]
	ds_write_b128 v178, v[44:47]
	ds_write_b128 v178, v[48:51] offset:816
	ds_write_b128 v178, v[52:55] offset:1632
	;; [unrolled: 1-line block ×7, first 2 shown]
	s_waitcnt lgkmcnt(0)
	s_barrier
	buffer_gl0_inv
	s_clause 0x2
	global_load_dwordx4 v[4:7], v[0:1], off offset:112
	global_load_dwordx4 v[8:11], v[82:83], off offset:928
	;; [unrolled: 1-line block ×3, first 2 shown]
	v_add_co_u32 v28, s0, 0x2800, v2
	v_add_co_ci_u32_e64 v29, s0, 0, v3, s0
	s_clause 0x4
	global_load_dwordx4 v[0:3], v[68:69], off offset:512
	global_load_dwordx4 v[16:19], v[68:69], off offset:1328
	;; [unrolled: 1-line block ×5, first 2 shown]
	ds_read_b128 v[32:35], v178 offset:6528
	ds_read_b128 v[36:39], v178 offset:7344
	;; [unrolled: 1-line block ×8, first 2 shown]
	ds_read_b128 v[64:67], v178
	ds_read_b128 v[68:71], v178 offset:816
	ds_read_b128 v[78:81], v178 offset:1632
	;; [unrolled: 1-line block ×5, first 2 shown]
	s_waitcnt vmcnt(7) lgkmcnt(13)
	v_mul_f64 v[94:95], v[34:35], v[6:7]
	v_mul_f64 v[6:7], v[32:33], v[6:7]
	s_waitcnt vmcnt(6) lgkmcnt(12)
	v_mul_f64 v[96:97], v[38:39], v[10:11]
	v_mul_f64 v[10:11], v[36:37], v[10:11]
	;; [unrolled: 3-line block ×8, first 2 shown]
	v_fma_f64 v[32:33], v[32:33], v[4:5], -v[94:95]
	v_fma_f64 v[34:35], v[34:35], v[4:5], v[6:7]
	v_fma_f64 v[36:37], v[36:37], v[8:9], -v[96:97]
	v_fma_f64 v[38:39], v[38:39], v[8:9], v[10:11]
	;; [unrolled: 2-line block ×8, first 2 shown]
	ds_read_b128 v[0:3], v178 offset:4896
	ds_read_b128 v[4:7], v178 offset:5712
	s_waitcnt lgkmcnt(0)
	s_barrier
	buffer_gl0_inv
	v_add_f64 v[8:9], v[64:65], -v[32:33]
	v_add_f64 v[10:11], v[66:67], -v[34:35]
	;; [unrolled: 1-line block ×16, first 2 shown]
	v_fma_f64 v[40:41], v[64:65], 2.0, -v[8:9]
	v_fma_f64 v[42:43], v[66:67], 2.0, -v[10:11]
	;; [unrolled: 1-line block ×16, first 2 shown]
	ds_write_b128 v178, v[8:11] offset:6528
	ds_write_b128 v178, v[12:15] offset:7344
	;; [unrolled: 1-line block ×8, first 2 shown]
	ds_write_b128 v178, v[40:43]
	ds_write_b128 v178, v[44:47] offset:816
	ds_write_b128 v178, v[48:51] offset:1632
	;; [unrolled: 1-line block ×7, first 2 shown]
	s_waitcnt lgkmcnt(0)
	s_barrier
	buffer_gl0_inv
	s_and_saveexec_b32 s0, vcc_lo
	s_cbranch_execz .LBB0_27
; %bb.26:
	v_mul_lo_u32 v2, s3, v76
	v_mul_lo_u32 v3, s2, v77
	v_mad_u64_u32 v[0:1], null, s2, v76, 0
	v_lshl_add_u32 v30, v74, 4, 0
	v_mov_b32_e32 v75, 0
	v_lshlrev_b64 v[8:9], 4, v[72:73]
	v_add_nc_u32_e32 v10, 51, v74
	v_add_nc_u32_e32 v16, 0x66, v74
	;; [unrolled: 1-line block ×3, first 2 shown]
	v_add3_u32 v1, v1, v3, v2
	v_lshlrev_b64 v[14:15], 4, v[74:75]
	v_mov_b32_e32 v11, v75
	v_mov_b32_e32 v17, v75
	;; [unrolled: 1-line block ×3, first 2 shown]
	v_lshlrev_b64 v[12:13], 4, v[0:1]
	ds_read_b128 v[0:3], v30
	ds_read_b128 v[4:7], v30 offset:816
	v_lshlrev_b64 v[22:23], 4, v[10:11]
	v_lshlrev_b64 v[16:17], 4, v[16:17]
	;; [unrolled: 1-line block ×3, first 2 shown]
	v_add_nc_u32_e32 v24, 0xcc, v74
	v_add_co_u32 v12, vcc_lo, s10, v12
	v_add_co_ci_u32_e32 v13, vcc_lo, s11, v13, vcc_lo
	v_mov_b32_e32 v25, v75
	v_add_co_u32 v31, vcc_lo, v12, v8
	v_add_co_ci_u32_e32 v32, vcc_lo, v13, v9, vcc_lo
	v_add_nc_u32_e32 v28, 0xff, v74
	v_add_co_u32 v20, vcc_lo, v31, v14
	v_add_co_ci_u32_e32 v21, vcc_lo, v32, v15, vcc_lo
	ds_read_b128 v[8:11], v30 offset:1632
	ds_read_b128 v[12:15], v30 offset:2448
	v_mov_b32_e32 v29, v75
	v_lshlrev_b64 v[24:25], 4, v[24:25]
	s_waitcnt lgkmcnt(3)
	global_store_dwordx4 v[20:21], v[0:3], off
	v_add_co_u32 v20, vcc_lo, v31, v22
	v_add_co_ci_u32_e32 v21, vcc_lo, v32, v23, vcc_lo
	v_add_co_u32 v22, vcc_lo, v31, v16
	v_add_co_ci_u32_e32 v23, vcc_lo, v32, v17, vcc_lo
	v_add_co_u32 v26, vcc_lo, v31, v18
	ds_read_b128 v[0:3], v30 offset:3264
	v_add_co_ci_u32_e32 v27, vcc_lo, v32, v19, vcc_lo
	ds_read_b128 v[16:19], v30 offset:4080
	s_waitcnt lgkmcnt(4)
	global_store_dwordx4 v[20:21], v[4:7], off
	s_waitcnt lgkmcnt(3)
	global_store_dwordx4 v[22:23], v[8:11], off
	;; [unrolled: 2-line block ×3, first 2 shown]
	v_lshlrev_b64 v[4:5], 4, v[28:29]
	v_add_co_u32 v6, vcc_lo, v31, v24
	v_add_co_ci_u32_e32 v7, vcc_lo, v32, v25, vcc_lo
	v_add_nc_u32_e32 v8, 0x132, v74
	v_add_co_u32 v4, vcc_lo, v31, v4
	v_add_co_ci_u32_e32 v5, vcc_lo, v32, v5, vcc_lo
	v_mov_b32_e32 v9, v75
	v_add_nc_u32_e32 v10, 0x165, v74
	v_mov_b32_e32 v11, v75
	s_waitcnt lgkmcnt(1)
	global_store_dwordx4 v[6:7], v[0:3], off
	v_add_nc_u32_e32 v28, 0x1fe, v74
	v_lshlrev_b64 v[12:13], 4, v[8:9]
	s_waitcnt lgkmcnt(0)
	global_store_dwordx4 v[4:5], v[16:19], off
	ds_read_b128 v[0:3], v30 offset:4896
	ds_read_b128 v[4:7], v30 offset:5712
	v_lshlrev_b64 v[14:15], 4, v[10:11]
	ds_read_b128 v[8:11], v30 offset:6528
	v_add_nc_u32_e32 v16, 0x198, v74
	v_mov_b32_e32 v17, v75
	v_add_co_u32 v20, vcc_lo, v31, v12
	v_add_co_ci_u32_e32 v21, vcc_lo, v32, v13, vcc_lo
	v_lshlrev_b64 v[12:13], 4, v[16:17]
	v_add_nc_u32_e32 v16, 0x1cb, v74
	v_add_co_u32 v22, vcc_lo, v31, v14
	v_add_co_ci_u32_e32 v23, vcc_lo, v32, v15, vcc_lo
	v_lshlrev_b64 v[26:27], 4, v[16:17]
	ds_read_b128 v[16:19], v30 offset:8160
	v_add_co_u32 v24, vcc_lo, v31, v12
	v_add_co_ci_u32_e32 v25, vcc_lo, v32, v13, vcc_lo
	ds_read_b128 v[12:15], v30 offset:7344
	s_waitcnt lgkmcnt(4)
	global_store_dwordx4 v[20:21], v[0:3], off
	s_waitcnt lgkmcnt(3)
	global_store_dwordx4 v[22:23], v[4:7], off
	;; [unrolled: 2-line block ×3, first 2 shown]
	v_lshlrev_b64 v[0:1], 4, v[28:29]
	v_add_co_u32 v2, vcc_lo, v31, v26
	v_add_co_ci_u32_e32 v3, vcc_lo, v32, v27, vcc_lo
	v_add_nc_u32_e32 v4, 0x231, v74
	v_mov_b32_e32 v5, v75
	v_add_co_u32 v6, vcc_lo, v31, v0
	v_add_co_ci_u32_e32 v7, vcc_lo, v32, v1, vcc_lo
	v_add_nc_u32_e32 v8, 0x264, v74
	v_mov_b32_e32 v9, v75
	v_lshlrev_b64 v[4:5], 4, v[4:5]
	s_waitcnt lgkmcnt(1)
	global_store_dwordx4 v[6:7], v[16:19], off
	v_add_nc_u32_e32 v24, 0x2ca, v74
	v_mov_b32_e32 v25, v75
	v_lshlrev_b64 v[6:7], 4, v[8:9]
	s_waitcnt lgkmcnt(0)
	global_store_dwordx4 v[2:3], v[12:15], off
	v_add_co_u32 v20, vcc_lo, v31, v4
	v_add_nc_u32_e32 v12, 0x297, v74
	v_mov_b32_e32 v13, v75
	v_add_co_ci_u32_e32 v21, vcc_lo, v32, v5, vcc_lo
	v_add_co_u32 v22, vcc_lo, v31, v6
	ds_read_b128 v[0:3], v30 offset:8976
	v_add_co_ci_u32_e32 v23, vcc_lo, v32, v7, vcc_lo
	ds_read_b128 v[4:7], v30 offset:9792
	ds_read_b128 v[8:11], v30 offset:10608
	v_lshlrev_b64 v[26:27], 4, v[12:13]
	ds_read_b128 v[12:15], v30 offset:11424
	ds_read_b128 v[16:19], v30 offset:12240
	v_add_nc_u32_e32 v74, 0x2fd, v74
	v_lshlrev_b64 v[24:25], 4, v[24:25]
	v_add_co_u32 v26, vcc_lo, v31, v26
	v_lshlrev_b64 v[28:29], 4, v[74:75]
	v_add_co_ci_u32_e32 v27, vcc_lo, v32, v27, vcc_lo
	v_add_co_u32 v24, vcc_lo, v31, v24
	v_add_co_ci_u32_e32 v25, vcc_lo, v32, v25, vcc_lo
	v_add_co_u32 v28, vcc_lo, v31, v28
	v_add_co_ci_u32_e32 v29, vcc_lo, v32, v29, vcc_lo
	s_waitcnt lgkmcnt(4)
	global_store_dwordx4 v[20:21], v[0:3], off
	s_waitcnt lgkmcnt(3)
	global_store_dwordx4 v[22:23], v[4:7], off
	;; [unrolled: 2-line block ×5, first 2 shown]
.LBB0_27:
	s_endpgm
	.section	.rodata,"a",@progbits
	.p2align	6, 0x0
	.amdhsa_kernel fft_rtc_fwd_len816_factors_17_2_3_2_2_2_wgs_51_tpt_51_halfLds_dp_op_CI_CI_unitstride_sbrr_C2R_dirReg
		.amdhsa_group_segment_fixed_size 0
		.amdhsa_private_segment_fixed_size 0
		.amdhsa_kernarg_size 104
		.amdhsa_user_sgpr_count 6
		.amdhsa_user_sgpr_private_segment_buffer 1
		.amdhsa_user_sgpr_dispatch_ptr 0
		.amdhsa_user_sgpr_queue_ptr 0
		.amdhsa_user_sgpr_kernarg_segment_ptr 1
		.amdhsa_user_sgpr_dispatch_id 0
		.amdhsa_user_sgpr_flat_scratch_init 0
		.amdhsa_user_sgpr_private_segment_size 0
		.amdhsa_wavefront_size32 1
		.amdhsa_uses_dynamic_stack 0
		.amdhsa_system_sgpr_private_segment_wavefront_offset 0
		.amdhsa_system_sgpr_workgroup_id_x 1
		.amdhsa_system_sgpr_workgroup_id_y 0
		.amdhsa_system_sgpr_workgroup_id_z 0
		.amdhsa_system_sgpr_workgroup_info 0
		.amdhsa_system_vgpr_workitem_id 0
		.amdhsa_next_free_vgpr 235
		.amdhsa_next_free_sgpr 56
		.amdhsa_reserve_vcc 1
		.amdhsa_reserve_flat_scratch 0
		.amdhsa_float_round_mode_32 0
		.amdhsa_float_round_mode_16_64 0
		.amdhsa_float_denorm_mode_32 3
		.amdhsa_float_denorm_mode_16_64 3
		.amdhsa_dx10_clamp 1
		.amdhsa_ieee_mode 1
		.amdhsa_fp16_overflow 0
		.amdhsa_workgroup_processor_mode 1
		.amdhsa_memory_ordered 1
		.amdhsa_forward_progress 0
		.amdhsa_shared_vgpr_count 0
		.amdhsa_exception_fp_ieee_invalid_op 0
		.amdhsa_exception_fp_denorm_src 0
		.amdhsa_exception_fp_ieee_div_zero 0
		.amdhsa_exception_fp_ieee_overflow 0
		.amdhsa_exception_fp_ieee_underflow 0
		.amdhsa_exception_fp_ieee_inexact 0
		.amdhsa_exception_int_div_zero 0
	.end_amdhsa_kernel
	.text
.Lfunc_end0:
	.size	fft_rtc_fwd_len816_factors_17_2_3_2_2_2_wgs_51_tpt_51_halfLds_dp_op_CI_CI_unitstride_sbrr_C2R_dirReg, .Lfunc_end0-fft_rtc_fwd_len816_factors_17_2_3_2_2_2_wgs_51_tpt_51_halfLds_dp_op_CI_CI_unitstride_sbrr_C2R_dirReg
                                        ; -- End function
	.section	.AMDGPU.csdata,"",@progbits
; Kernel info:
; codeLenInByte = 17108
; NumSgprs: 58
; NumVgprs: 235
; ScratchSize: 0
; MemoryBound: 0
; FloatMode: 240
; IeeeMode: 1
; LDSByteSize: 0 bytes/workgroup (compile time only)
; SGPRBlocks: 7
; VGPRBlocks: 29
; NumSGPRsForWavesPerEU: 58
; NumVGPRsForWavesPerEU: 235
; Occupancy: 4
; WaveLimiterHint : 1
; COMPUTE_PGM_RSRC2:SCRATCH_EN: 0
; COMPUTE_PGM_RSRC2:USER_SGPR: 6
; COMPUTE_PGM_RSRC2:TRAP_HANDLER: 0
; COMPUTE_PGM_RSRC2:TGID_X_EN: 1
; COMPUTE_PGM_RSRC2:TGID_Y_EN: 0
; COMPUTE_PGM_RSRC2:TGID_Z_EN: 0
; COMPUTE_PGM_RSRC2:TIDIG_COMP_CNT: 0
	.text
	.p2alignl 6, 3214868480
	.fill 48, 4, 3214868480
	.type	__hip_cuid_d03fd6b82f47ec08,@object ; @__hip_cuid_d03fd6b82f47ec08
	.section	.bss,"aw",@nobits
	.globl	__hip_cuid_d03fd6b82f47ec08
__hip_cuid_d03fd6b82f47ec08:
	.byte	0                               ; 0x0
	.size	__hip_cuid_d03fd6b82f47ec08, 1

	.ident	"AMD clang version 19.0.0git (https://github.com/RadeonOpenCompute/llvm-project roc-6.4.0 25133 c7fe45cf4b819c5991fe208aaa96edf142730f1d)"
	.section	".note.GNU-stack","",@progbits
	.addrsig
	.addrsig_sym __hip_cuid_d03fd6b82f47ec08
	.amdgpu_metadata
---
amdhsa.kernels:
  - .args:
      - .actual_access:  read_only
        .address_space:  global
        .offset:         0
        .size:           8
        .value_kind:     global_buffer
      - .offset:         8
        .size:           8
        .value_kind:     by_value
      - .actual_access:  read_only
        .address_space:  global
        .offset:         16
        .size:           8
        .value_kind:     global_buffer
      - .actual_access:  read_only
        .address_space:  global
        .offset:         24
        .size:           8
        .value_kind:     global_buffer
      - .actual_access:  read_only
        .address_space:  global
        .offset:         32
        .size:           8
        .value_kind:     global_buffer
      - .offset:         40
        .size:           8
        .value_kind:     by_value
      - .actual_access:  read_only
        .address_space:  global
        .offset:         48
        .size:           8
        .value_kind:     global_buffer
      - .actual_access:  read_only
        .address_space:  global
        .offset:         56
        .size:           8
        .value_kind:     global_buffer
      - .offset:         64
        .size:           4
        .value_kind:     by_value
      - .actual_access:  read_only
        .address_space:  global
        .offset:         72
        .size:           8
        .value_kind:     global_buffer
      - .actual_access:  read_only
        .address_space:  global
        .offset:         80
        .size:           8
        .value_kind:     global_buffer
      - .actual_access:  read_only
        .address_space:  global
        .offset:         88
        .size:           8
        .value_kind:     global_buffer
      - .actual_access:  write_only
        .address_space:  global
        .offset:         96
        .size:           8
        .value_kind:     global_buffer
    .group_segment_fixed_size: 0
    .kernarg_segment_align: 8
    .kernarg_segment_size: 104
    .language:       OpenCL C
    .language_version:
      - 2
      - 0
    .max_flat_workgroup_size: 51
    .name:           fft_rtc_fwd_len816_factors_17_2_3_2_2_2_wgs_51_tpt_51_halfLds_dp_op_CI_CI_unitstride_sbrr_C2R_dirReg
    .private_segment_fixed_size: 0
    .sgpr_count:     58
    .sgpr_spill_count: 0
    .symbol:         fft_rtc_fwd_len816_factors_17_2_3_2_2_2_wgs_51_tpt_51_halfLds_dp_op_CI_CI_unitstride_sbrr_C2R_dirReg.kd
    .uniform_work_group_size: 1
    .uses_dynamic_stack: false
    .vgpr_count:     235
    .vgpr_spill_count: 0
    .wavefront_size: 32
    .workgroup_processor_mode: 1
amdhsa.target:   amdgcn-amd-amdhsa--gfx1030
amdhsa.version:
  - 1
  - 2
...

	.end_amdgpu_metadata
